;; amdgpu-corpus repo=ROCm/rocFFT kind=compiled arch=gfx1030 opt=O3
	.text
	.amdgcn_target "amdgcn-amd-amdhsa--gfx1030"
	.amdhsa_code_object_version 6
	.protected	fft_rtc_back_len663_factors_17_13_3_wgs_51_tpt_51_half_op_CI_CI_unitstride_sbrr_dirReg ; -- Begin function fft_rtc_back_len663_factors_17_13_3_wgs_51_tpt_51_half_op_CI_CI_unitstride_sbrr_dirReg
	.globl	fft_rtc_back_len663_factors_17_13_3_wgs_51_tpt_51_half_op_CI_CI_unitstride_sbrr_dirReg
	.p2align	8
	.type	fft_rtc_back_len663_factors_17_13_3_wgs_51_tpt_51_half_op_CI_CI_unitstride_sbrr_dirReg,@function
fft_rtc_back_len663_factors_17_13_3_wgs_51_tpt_51_half_op_CI_CI_unitstride_sbrr_dirReg: ; @fft_rtc_back_len663_factors_17_13_3_wgs_51_tpt_51_half_op_CI_CI_unitstride_sbrr_dirReg
; %bb.0:
	s_clause 0x2
	s_load_dwordx4 s[8:11], s[4:5], 0x0
	s_load_dwordx4 s[12:15], s[4:5], 0x58
	;; [unrolled: 1-line block ×3, first 2 shown]
	v_mul_u32_u24_e32 v1, 0x506, v0
	v_mov_b32_e32 v3, 0
	v_mov_b32_e32 v7, 0
	;; [unrolled: 1-line block ×3, first 2 shown]
	v_add_nc_u32_sdwa v9, s6, v1 dst_sel:DWORD dst_unused:UNUSED_PAD src0_sel:DWORD src1_sel:WORD_1
	v_mov_b32_e32 v10, v3
	s_waitcnt lgkmcnt(0)
	v_cmp_lt_u64_e64 s0, s[10:11], 2
	s_and_b32 vcc_lo, exec_lo, s0
	s_cbranch_vccnz .LBB0_8
; %bb.1:
	s_load_dwordx2 s[0:1], s[4:5], 0x10
	v_mov_b32_e32 v7, 0
	v_mov_b32_e32 v8, 0
	s_add_u32 s2, s18, 8
	s_addc_u32 s3, s19, 0
	v_mov_b32_e32 v1, v7
	s_add_u32 s6, s16, 8
	v_mov_b32_e32 v2, v8
	s_addc_u32 s7, s17, 0
	s_mov_b64 s[22:23], 1
	s_waitcnt lgkmcnt(0)
	s_add_u32 s20, s0, 8
	s_addc_u32 s21, s1, 0
.LBB0_2:                                ; =>This Inner Loop Header: Depth=1
	s_load_dwordx2 s[24:25], s[20:21], 0x0
                                        ; implicit-def: $vgpr5_vgpr6
	s_mov_b32 s0, exec_lo
	s_waitcnt lgkmcnt(0)
	v_or_b32_e32 v4, s25, v10
	v_cmpx_ne_u64_e32 0, v[3:4]
	s_xor_b32 s1, exec_lo, s0
	s_cbranch_execz .LBB0_4
; %bb.3:                                ;   in Loop: Header=BB0_2 Depth=1
	v_cvt_f32_u32_e32 v4, s24
	v_cvt_f32_u32_e32 v5, s25
	s_sub_u32 s0, 0, s24
	s_subb_u32 s26, 0, s25
	v_fmac_f32_e32 v4, 0x4f800000, v5
	v_rcp_f32_e32 v4, v4
	v_mul_f32_e32 v4, 0x5f7ffffc, v4
	v_mul_f32_e32 v5, 0x2f800000, v4
	v_trunc_f32_e32 v5, v5
	v_fmac_f32_e32 v4, 0xcf800000, v5
	v_cvt_u32_f32_e32 v5, v5
	v_cvt_u32_f32_e32 v4, v4
	v_mul_lo_u32 v6, s0, v5
	v_mul_hi_u32 v11, s0, v4
	v_mul_lo_u32 v12, s26, v4
	v_add_nc_u32_e32 v6, v11, v6
	v_mul_lo_u32 v11, s0, v4
	v_add_nc_u32_e32 v6, v6, v12
	v_mul_hi_u32 v12, v4, v11
	v_mul_lo_u32 v13, v4, v6
	v_mul_hi_u32 v14, v4, v6
	v_mul_hi_u32 v15, v5, v11
	v_mul_lo_u32 v11, v5, v11
	v_mul_hi_u32 v16, v5, v6
	v_mul_lo_u32 v6, v5, v6
	v_add_co_u32 v12, vcc_lo, v12, v13
	v_add_co_ci_u32_e32 v13, vcc_lo, 0, v14, vcc_lo
	v_add_co_u32 v11, vcc_lo, v12, v11
	v_add_co_ci_u32_e32 v11, vcc_lo, v13, v15, vcc_lo
	v_add_co_ci_u32_e32 v12, vcc_lo, 0, v16, vcc_lo
	v_add_co_u32 v6, vcc_lo, v11, v6
	v_add_co_ci_u32_e32 v11, vcc_lo, 0, v12, vcc_lo
	v_add_co_u32 v4, vcc_lo, v4, v6
	v_add_co_ci_u32_e32 v5, vcc_lo, v5, v11, vcc_lo
	v_mul_hi_u32 v6, s0, v4
	v_mul_lo_u32 v12, s26, v4
	v_mul_lo_u32 v11, s0, v5
	v_add_nc_u32_e32 v6, v6, v11
	v_mul_lo_u32 v11, s0, v4
	v_add_nc_u32_e32 v6, v6, v12
	v_mul_hi_u32 v12, v4, v11
	v_mul_lo_u32 v13, v4, v6
	v_mul_hi_u32 v14, v4, v6
	v_mul_hi_u32 v15, v5, v11
	v_mul_lo_u32 v11, v5, v11
	v_mul_hi_u32 v16, v5, v6
	v_mul_lo_u32 v6, v5, v6
	v_add_co_u32 v12, vcc_lo, v12, v13
	v_add_co_ci_u32_e32 v13, vcc_lo, 0, v14, vcc_lo
	v_add_co_u32 v11, vcc_lo, v12, v11
	v_add_co_ci_u32_e32 v11, vcc_lo, v13, v15, vcc_lo
	v_add_co_ci_u32_e32 v12, vcc_lo, 0, v16, vcc_lo
	v_add_co_u32 v6, vcc_lo, v11, v6
	v_add_co_ci_u32_e32 v11, vcc_lo, 0, v12, vcc_lo
	v_add_co_u32 v6, vcc_lo, v4, v6
	v_add_co_ci_u32_e32 v13, vcc_lo, v5, v11, vcc_lo
	v_mul_hi_u32 v15, v9, v6
	v_mad_u64_u32 v[11:12], null, v10, v6, 0
	v_mad_u64_u32 v[4:5], null, v9, v13, 0
	;; [unrolled: 1-line block ×3, first 2 shown]
	v_add_co_u32 v4, vcc_lo, v15, v4
	v_add_co_ci_u32_e32 v5, vcc_lo, 0, v5, vcc_lo
	v_add_co_u32 v4, vcc_lo, v4, v11
	v_add_co_ci_u32_e32 v4, vcc_lo, v5, v12, vcc_lo
	v_add_co_ci_u32_e32 v5, vcc_lo, 0, v14, vcc_lo
	v_add_co_u32 v11, vcc_lo, v4, v13
	v_add_co_ci_u32_e32 v6, vcc_lo, 0, v5, vcc_lo
	v_mul_lo_u32 v12, s25, v11
	v_mad_u64_u32 v[4:5], null, s24, v11, 0
	v_mul_lo_u32 v13, s24, v6
	v_sub_co_u32 v4, vcc_lo, v9, v4
	v_add3_u32 v5, v5, v13, v12
	v_sub_nc_u32_e32 v12, v10, v5
	v_subrev_co_ci_u32_e64 v12, s0, s25, v12, vcc_lo
	v_add_co_u32 v13, s0, v11, 2
	v_add_co_ci_u32_e64 v14, s0, 0, v6, s0
	v_sub_co_u32 v15, s0, v4, s24
	v_sub_co_ci_u32_e32 v5, vcc_lo, v10, v5, vcc_lo
	v_subrev_co_ci_u32_e64 v12, s0, 0, v12, s0
	v_cmp_le_u32_e32 vcc_lo, s24, v15
	v_cmp_eq_u32_e64 s0, s25, v5
	v_cndmask_b32_e64 v15, 0, -1, vcc_lo
	v_cmp_le_u32_e32 vcc_lo, s25, v12
	v_cndmask_b32_e64 v16, 0, -1, vcc_lo
	v_cmp_le_u32_e32 vcc_lo, s24, v4
	;; [unrolled: 2-line block ×3, first 2 shown]
	v_cndmask_b32_e64 v17, 0, -1, vcc_lo
	v_cmp_eq_u32_e32 vcc_lo, s25, v12
	v_cndmask_b32_e64 v4, v17, v4, s0
	v_cndmask_b32_e32 v12, v16, v15, vcc_lo
	v_add_co_u32 v15, vcc_lo, v11, 1
	v_add_co_ci_u32_e32 v16, vcc_lo, 0, v6, vcc_lo
	v_cmp_ne_u32_e32 vcc_lo, 0, v12
	v_cndmask_b32_e32 v5, v16, v14, vcc_lo
	v_cndmask_b32_e32 v12, v15, v13, vcc_lo
	v_cmp_ne_u32_e32 vcc_lo, 0, v4
	v_cndmask_b32_e32 v6, v6, v5, vcc_lo
	v_cndmask_b32_e32 v5, v11, v12, vcc_lo
.LBB0_4:                                ;   in Loop: Header=BB0_2 Depth=1
	s_andn2_saveexec_b32 s0, s1
	s_cbranch_execz .LBB0_6
; %bb.5:                                ;   in Loop: Header=BB0_2 Depth=1
	v_cvt_f32_u32_e32 v4, s24
	s_sub_i32 s1, 0, s24
	v_rcp_iflag_f32_e32 v4, v4
	v_mul_f32_e32 v4, 0x4f7ffffe, v4
	v_cvt_u32_f32_e32 v4, v4
	v_mul_lo_u32 v5, s1, v4
	v_mul_hi_u32 v5, v4, v5
	v_add_nc_u32_e32 v4, v4, v5
	v_mul_hi_u32 v4, v9, v4
	v_mul_lo_u32 v5, v4, s24
	v_add_nc_u32_e32 v6, 1, v4
	v_sub_nc_u32_e32 v5, v9, v5
	v_subrev_nc_u32_e32 v11, s24, v5
	v_cmp_le_u32_e32 vcc_lo, s24, v5
	v_cndmask_b32_e32 v5, v5, v11, vcc_lo
	v_cndmask_b32_e32 v4, v4, v6, vcc_lo
	v_cmp_le_u32_e32 vcc_lo, s24, v5
	v_add_nc_u32_e32 v6, 1, v4
	v_cndmask_b32_e32 v5, v4, v6, vcc_lo
	v_mov_b32_e32 v6, v3
.LBB0_6:                                ;   in Loop: Header=BB0_2 Depth=1
	s_or_b32 exec_lo, exec_lo, s0
	v_mul_lo_u32 v4, v6, s24
	v_mul_lo_u32 v13, v5, s25
	s_load_dwordx2 s[0:1], s[6:7], 0x0
	v_mad_u64_u32 v[11:12], null, v5, s24, 0
	s_load_dwordx2 s[24:25], s[2:3], 0x0
	s_add_u32 s22, s22, 1
	s_addc_u32 s23, s23, 0
	s_add_u32 s2, s2, 8
	s_addc_u32 s3, s3, 0
	s_add_u32 s6, s6, 8
	v_add3_u32 v4, v12, v13, v4
	v_sub_co_u32 v9, vcc_lo, v9, v11
	s_addc_u32 s7, s7, 0
	s_add_u32 s20, s20, 8
	v_sub_co_ci_u32_e32 v4, vcc_lo, v10, v4, vcc_lo
	s_addc_u32 s21, s21, 0
	s_waitcnt lgkmcnt(0)
	v_mul_lo_u32 v10, s0, v4
	v_mul_lo_u32 v11, s1, v9
	v_mad_u64_u32 v[7:8], null, s0, v9, v[7:8]
	v_mul_lo_u32 v4, s24, v4
	v_mul_lo_u32 v12, s25, v9
	v_mad_u64_u32 v[1:2], null, s24, v9, v[1:2]
	v_cmp_ge_u64_e64 s0, s[22:23], s[10:11]
	v_add3_u32 v8, v11, v8, v10
	v_add3_u32 v2, v12, v2, v4
	s_and_b32 vcc_lo, exec_lo, s0
	s_cbranch_vccnz .LBB0_9
; %bb.7:                                ;   in Loop: Header=BB0_2 Depth=1
	v_mov_b32_e32 v10, v6
	v_mov_b32_e32 v9, v5
	s_branch .LBB0_2
.LBB0_8:
	v_mov_b32_e32 v1, v7
	v_mov_b32_e32 v5, v9
	;; [unrolled: 1-line block ×4, first 2 shown]
.LBB0_9:
	s_load_dwordx2 s[0:1], s[4:5], 0x28
	v_mul_hi_u32 v3, 0x5050506, v0
	s_lshl_b64 s[4:5], s[10:11], 3
                                        ; implicit-def: $vgpr28
                                        ; implicit-def: $vgpr4
                                        ; implicit-def: $vgpr27
                                        ; implicit-def: $vgpr10
                                        ; implicit-def: $vgpr26
                                        ; implicit-def: $vgpr11
                                        ; implicit-def: $vgpr22
                                        ; implicit-def: $vgpr12
                                        ; implicit-def: $vgpr20
                                        ; implicit-def: $vgpr14
                                        ; implicit-def: $vgpr17
                                        ; implicit-def: $vgpr16
                                        ; implicit-def: $vgpr19
                                        ; implicit-def: $vgpr18
                                        ; implicit-def: $vgpr30
                                        ; implicit-def: $vgpr9
	s_add_u32 s2, s18, s4
	s_addc_u32 s3, s19, s5
	v_mul_u32_u24_e32 v3, 51, v3
	v_sub_nc_u32_e32 v3, v0, v3
	v_mov_b32_e32 v0, 0
	s_waitcnt lgkmcnt(0)
	v_cmp_gt_u64_e32 vcc_lo, s[0:1], v[5:6]
	v_cmp_gt_u32_e64 s0, 39, v3
	s_and_b32 s1, vcc_lo, s0
	s_and_saveexec_b32 s6, s1
	s_cbranch_execz .LBB0_11
; %bb.10:
	s_add_u32 s4, s16, s4
	s_addc_u32 s5, s17, s5
	v_lshlrev_b64 v[7:8], 2, v[7:8]
	s_load_dwordx2 s[4:5], s[4:5], 0x0
	s_waitcnt lgkmcnt(0)
	v_mul_lo_u32 v0, s5, v5
	v_mul_lo_u32 v4, s4, v6
	v_mad_u64_u32 v[9:10], null, s4, v5, 0
	v_add3_u32 v10, v10, v4, v0
	v_mov_b32_e32 v4, 0
	v_lshlrev_b64 v[9:10], 2, v[9:10]
	v_add_co_u32 v0, s1, s12, v9
	v_add_co_ci_u32_e64 v11, s1, s13, v10, s1
	v_lshlrev_b64 v[9:10], 2, v[3:4]
	v_add_co_u32 v0, s1, v0, v7
	v_add_co_ci_u32_e64 v4, s1, v11, v8, s1
	v_add_co_u32 v7, s1, v0, v9
	v_add_co_ci_u32_e64 v8, s1, v4, v10, s1
	s_clause 0x7
	global_load_dword v0, v[7:8], off
	global_load_dword v30, v[7:8], off offset:156
	global_load_dword v28, v[7:8], off offset:312
	;; [unrolled: 1-line block ×7, first 2 shown]
	v_add_co_u32 v23, s1, 0x800, v7
	v_add_co_ci_u32_e64 v24, s1, 0, v8, s1
	s_clause 0x8
	global_load_dword v19, v[7:8], off offset:1248
	global_load_dword v18, v[7:8], off offset:1404
	;; [unrolled: 1-line block ×9, first 2 shown]
.LBB0_11:
	s_or_b32 exec_lo, exec_lo, s6
	s_waitcnt vmcnt(0)
	v_pk_add_f16 v44, v30, v9 neg_lo:[0,1] neg_hi:[0,1]
	v_pk_add_f16 v7, v30, v9
	v_pk_add_f16 v48, v28, v4 neg_lo:[0,1] neg_hi:[0,1]
	v_pk_add_f16 v13, v28, v4
	v_pk_add_f16 v52, v27, v10 neg_lo:[0,1] neg_hi:[0,1]
	v_lshrrev_b32_e32 v55, 16, v44
	v_lshrrev_b32_e32 v34, 16, v7
	v_mul_f16_e32 v72, 0xbbf7, v44
	v_lshrrev_b32_e32 v54, 16, v48
	v_mul_f16_e32 v73, 0xbb29, v44
	v_mul_f16_e32 v84, 0xbb29, v55
	;; [unrolled: 1-line block ×3, first 2 shown]
	v_fmamk_f16 v15, v34, 0x2de8, v72
	v_mul_f16_e32 v82, 0xba62, v54
	v_lshrrev_b32_e32 v35, 16, v13
	v_fma_f16 v21, v7, 0x3722, -v84
	v_fma_f16 v23, v7, 0x2de8, -v71
	v_fmamk_f16 v8, v34, 0x3722, v73
	v_add_f16_sdwa v24, v0, v15 dst_sel:DWORD dst_unused:UNUSED_PAD src0_sel:WORD_1 src1_sel:DWORD
	v_mul_f16_e32 v76, 0xba62, v48
	v_add_f16_e32 v15, v0, v21
	v_add_f16_e32 v21, v0, v23
	v_fma_f16 v23, v13, 0xb8d2, -v82
	v_mul_f16_e32 v75, 0xb1e1, v54
	v_lshrrev_b32_e32 v57, 16, v52
	v_add_f16_sdwa v8, v0, v8 dst_sel:DWORD dst_unused:UNUSED_PAD src0_sel:WORD_1 src1_sel:DWORD
	v_fmamk_f16 v25, v35, 0xb8d2, v76
	v_add_f16_e32 v23, v15, v23
	v_fma_f16 v29, v13, 0xbbdd, -v75
	v_pk_add_f16 v15, v27, v10
	v_mul_f16_e32 v83, 0x31e1, v57
	v_pk_add_f16 v56, v26, v11 neg_lo:[0,1] neg_hi:[0,1]
	v_mul_f16_e32 v74, 0xb1e1, v48
	v_add_f16_e32 v8, v8, v25
	v_add_f16_e32 v25, v21, v29
	v_lshrrev_b32_e32 v36, 16, v15
	v_fma_f16 v21, v15, 0xbbdd, -v83
	v_mul_f16_e32 v77, 0x31e1, v52
	v_lshrrev_b32_e32 v60, 16, v56
	v_fmamk_f16 v31, v35, 0xbbdd, v74
	v_mul_f16_e32 v79, 0x3bb2, v57
	v_add_f16_e32 v23, v23, v21
	v_fmamk_f16 v29, v36, 0xbbdd, v77
	v_pk_add_f16 v21, v26, v11
	v_mul_f16_e32 v85, 0x3bb2, v60
	v_pk_add_f16 v58, v22, v12 neg_lo:[0,1] neg_hi:[0,1]
	v_add_f16_e32 v24, v24, v31
	v_mul_f16_e32 v80, 0x3bb2, v52
	v_fma_f16 v31, v15, 0xb461, -v79
	v_add_f16_e32 v8, v8, v29
	v_lshrrev_b32_e32 v37, 16, v21
	v_fma_f16 v29, v21, 0xb461, -v85
	v_mul_f16_e32 v78, 0x3bb2, v56
	v_lshrrev_b32_e32 v61, 16, v58
	v_fmamk_f16 v32, v36, 0xb461, v80
	v_add_f16_e32 v25, v25, v31
	v_mul_f16_e32 v94, 0x35c8, v60
	v_add_f16_e32 v23, v23, v29
	v_fmamk_f16 v31, v37, 0xb461, v78
	v_pk_add_f16 v29, v22, v12
	v_mul_f16_e32 v86, 0x3964, v61
	v_add_f16_e32 v24, v24, v32
	v_mul_f16_e32 v93, 0x35c8, v56
	v_fma_f16 v32, v21, 0x3b76, -v94
	v_add_f16_e32 v8, v8, v31
	v_lshrrev_b32_e32 v38, 16, v29
	v_fma_f16 v31, v29, 0x39e9, -v86
	v_mul_f16_e32 v81, 0x3964, v58
	v_pk_add_f16 v63, v20, v14 neg_lo:[0,1] neg_hi:[0,1]
	v_fmamk_f16 v33, v37, 0x3b76, v93
	v_add_f16_e32 v25, v25, v32
	v_mul_f16_e32 v98, 0xbb29, v61
	v_add_f16_e32 v23, v23, v31
	v_fmamk_f16 v32, v38, 0x39e9, v81
	v_mul_f16_e32 v133, 0xbb29, v58
	v_lshrrev_b32_e32 v65, 16, v63
	v_pk_add_f16 v31, v20, v14
	v_pk_add_f16 v64, v17, v16 neg_lo:[0,1] neg_hi:[0,1]
	v_add_f16_e32 v24, v24, v33
	v_fma_f16 v33, v29, 0x3722, -v98
	v_add_f16_e32 v8, v8, v32
	v_fmamk_f16 v32, v38, 0x3722, v133
	v_mul_f16_e32 v89, 0xb5c8, v65
	v_lshrrev_b32_e32 v39, 16, v31
	v_mul_f16_e32 v134, 0xb5c8, v63
	v_mul_f16_e32 v136, 0xb836, v65
	v_lshrrev_b32_e32 v66, 16, v64
	v_add_f16_e32 v25, v25, v33
	v_add_f16_e32 v24, v24, v32
	v_fma_f16 v33, v31, 0x3b76, -v89
	v_fmamk_f16 v40, v39, 0x3b76, v134
	v_fma_f16 v41, v31, 0xbacd, -v136
	v_mul_f16_e32 v137, 0xb836, v63
	v_pk_add_f16 v32, v17, v16
	v_mul_f16_e32 v88, 0xbbf7, v66
	v_add_f16_e32 v23, v23, v33
	v_add_f16_e32 v8, v8, v40
	;; [unrolled: 1-line block ×3, first 2 shown]
	v_fmamk_f16 v33, v39, 0xbacd, v137
	v_fma_f16 v41, v32, 0x2de8, -v88
	v_lshrrev_b32_e32 v40, 16, v32
	v_mul_f16_e32 v135, 0xbbf7, v64
	v_mul_f16_e32 v138, 0x3a62, v66
	v_pk_add_f16 v59, v19, v18 neg_lo:[0,1] neg_hi:[0,1]
	v_add_f16_e32 v24, v24, v33
	v_add_f16_e32 v23, v23, v41
	v_fmamk_f16 v41, v40, 0x2de8, v135
	v_fma_f16 v42, v32, 0xb8d2, -v138
	v_mul_f16_e32 v141, 0x3a62, v64
	v_lshrrev_b32_e32 v67, 16, v59
	v_pk_add_f16 v33, v19, v18
	v_add_f16_e32 v8, v8, v41
	v_add_f16_e32 v42, v25, v42
	v_fmamk_f16 v25, v40, 0xb8d2, v141
	v_mul_f16_e32 v87, 0xb836, v67
	v_lshrrev_b32_e32 v41, 16, v33
	v_mul_f16_e32 v140, 0xb836, v59
	v_mul_f16_e32 v139, 0x3964, v59
	;; [unrolled: 1-line block ×3, first 2 shown]
	v_add_f16_e32 v25, v24, v25
	v_fma_f16 v24, v33, 0xbacd, -v87
	v_fmamk_f16 v43, v41, 0xbacd, v140
	v_fmamk_f16 v45, v41, 0x39e9, v139
	v_fma_f16 v46, v33, 0x39e9, -v142
	v_add_f16_e32 v23, v23, v24
	v_add_f16_e32 v24, v8, v43
	;; [unrolled: 1-line block ×4, first 2 shown]
	s_and_saveexec_b32 s1, s0
	s_cbranch_execz .LBB0_13
; %bb.12:
	v_pk_mul_f16 v45, 0xbbdd, v7 op_sel_hi:[0,1]
	v_pk_mul_f16 v43, 0xb1e1, v44 op_sel_hi:[0,1]
	;; [unrolled: 1-line block ×4, first 2 shown]
	v_mul_f16_e32 v103, 0xb836, v44
	v_pk_mul_f16 v49, 0xbacd, v15 op_sel_hi:[0,1]
	v_add_f16_sdwa v47, v43, v45 dst_sel:DWORD dst_unused:UNUSED_PAD src0_sel:WORD_1 src1_sel:DWORD
	v_pk_mul_f16 v45, 0xb836, v52 op_sel_hi:[0,1]
	v_add_f16_sdwa v50, v42, v46 dst_sel:DWORD dst_unused:UNUSED_PAD src0_sel:WORD_1 src1_sel:DWORD
	v_mul_f16_e32 v99, 0x3b29, v48
	v_pk_mul_f16 v51, 0x39e9, v21 op_sel_hi:[0,1]
	v_add_f16_e32 v47, v0, v47
	v_pk_mul_f16 v46, 0x3964, v56 op_sel_hi:[0,1]
	v_fma_f16 v53, v34, 0xbacd, -v103
	v_add_f16_sdwa v49, v45, v49 dst_sel:DWORD dst_unused:UNUSED_PAD src0_sel:WORD_1 src1_sel:DWORD
	v_mul_f16_e32 v106, 0xbbf7, v52
	v_add_f16_e32 v47, v47, v50
	v_fma_f16 v50, v35, 0x3722, -v99
	v_add_f16_sdwa v51, v46, v51 dst_sel:DWORD dst_unused:UNUSED_PAD src0_sel:WORD_1 src1_sel:DWORD
	v_add_f16_sdwa v53, v0, v53 dst_sel:DWORD dst_unused:UNUSED_PAD src0_sel:WORD_1 src1_sel:DWORD
	v_pk_mul_f16 v62, 0xb8d2, v29 op_sel_hi:[0,1]
	v_add_f16_e32 v49, v47, v49
	v_pk_mul_f16 v47, 0xba62, v58 op_sel_hi:[0,1]
	v_fma_f16 v68, v36, 0x2de8, -v106
	v_add_f16_e32 v50, v53, v50
	v_mul_f16_e32 v114, 0x3a62, v56
	v_add_f16_e32 v51, v49, v51
	v_add_f16_sdwa v53, v47, v62 dst_sel:DWORD dst_unused:UNUSED_PAD src0_sel:WORD_1 src1_sel:DWORD
	v_pk_mul_f16 v62, 0x3722, v31 op_sel_hi:[0,1]
	v_pk_mul_f16 v49, 0x3b29, v63 op_sel_hi:[0,1]
	v_add_f16_e32 v68, v50, v68
	v_pk_mul_f16 v69, 0xb461, v32 op_sel_hi:[0,1]
	v_add_f16_e32 v51, v51, v53
	v_fma_f16 v53, v37, 0xb8d2, -v114
	v_add_f16_sdwa v62, v49, v62 dst_sel:DWORD dst_unused:UNUSED_PAD src0_sel:WORD_1 src1_sel:DWORD
	v_pk_mul_f16 v50, 0xbbb2, v64 op_sel_hi:[0,1]
	v_mul_f16_e32 v110, 0xbacd, v7
	v_mul_f16_e32 v132, 0xb5c8, v58
	v_add_f16_e32 v53, v68, v53
	v_add_f16_e32 v62, v51, v62
	v_add_f16_sdwa v68, v50, v69 dst_sel:DWORD dst_unused:UNUSED_PAD src0_sel:WORD_1 src1_sel:DWORD
	v_mul_f16_e32 v107, 0x3722, v13
	v_pk_mul_f16 v69, 0x2de8, v33 op_sel_hi:[0,1]
	v_pk_mul_f16 v51, 0x3bf7, v59 op_sel_hi:[0,1]
	v_fma_f16 v70, v38, 0x3b76, -v132
	v_add_f16_e32 v62, v62, v68
	v_fmamk_f16 v68, v55, 0xb836, v110
	v_mul_f16_e32 v122, 0xb1e1, v63
	v_fmamk_f16 v90, v54, 0x3b29, v107
	v_mul_f16_e32 v109, 0x2de8, v15
	v_add_f16_sdwa v69, v51, v69 dst_sel:DWORD dst_unused:UNUSED_PAD src0_sel:WORD_1 src1_sel:DWORD
	v_add_f16_e32 v68, v0, v68
	v_add_f16_e32 v53, v53, v70
	v_fma_f16 v70, v39, 0xbbdd, -v122
	v_mul_f16_e32 v124, 0x3964, v64
	v_mul_f16_e32 v104, 0xb8d2, v21
	v_add_f16_e32 v68, v68, v90
	v_fmamk_f16 v90, v57, 0xbbf7, v109
	v_add_f16_e32 v70, v53, v70
	v_fma_f16 v91, v40, 0x39e9, -v124
	v_add_f16_e32 v53, v62, v69
	v_mul_f16_e32 v105, 0x3b76, v29
	v_add_f16_e32 v62, v68, v90
	v_fmamk_f16 v68, v60, 0x3a62, v104
	v_mul_f16_e32 v102, 0xba62, v44
	v_add_f16_e32 v69, v70, v91
	v_mul_f16_e32 v125, 0xbbb2, v59
	v_mul_f16_e32 v115, 0xbbdd, v31
	v_add_f16_e32 v62, v62, v68
	v_fmamk_f16 v68, v61, 0xb5c8, v105
	v_fma_f16 v91, v34, 0xb8d2, -v102
	v_mul_f16_e32 v90, 0x3bb2, v48
	v_fma_f16 v70, v41, 0xb461, -v125
	v_mul_f16_e32 v111, 0x39e9, v32
	v_add_f16_e32 v62, v62, v68
	v_fmamk_f16 v68, v65, 0xb1e1, v115
	v_add_f16_sdwa v92, v0, v91 dst_sel:DWORD dst_unused:UNUSED_PAD src0_sel:WORD_1 src1_sel:DWORD
	v_fma_f16 v95, v35, 0xb461, -v90
	v_mul_f16_e32 v91, 0xb5c8, v52
	v_fmamk_f16 v96, v66, 0x3964, v111
	v_add_f16_e32 v68, v62, v68
	v_add_f16_e32 v62, v69, v70
	;; [unrolled: 1-line block ×3, first 2 shown]
	v_fma_f16 v70, v36, 0x3b76, -v91
	v_mul_f16_e32 v92, 0xb836, v56
	v_mul_f16_e32 v95, 0x3bf7, v58
	v_add_f16_e32 v68, v68, v96
	v_mul_f16_e32 v113, 0xba62, v55
	v_add_f16_e32 v69, v69, v70
	v_fma_f16 v70, v37, 0xbacd, -v92
	v_mul_f16_e32 v96, 0xb964, v63
	v_mul_f16_e32 v100, 0x3bb2, v54
	v_fmamk_f16 v97, v7, 0xb8d2, v113
	v_mul_f16_e32 v126, 0xbbb2, v44
	v_add_f16_e32 v69, v69, v70
	v_fma_f16 v70, v38, 0x2de8, -v95
	v_mul_f16_e32 v116, 0xb461, v33
	v_add_f16_e32 v108, v0, v97
	v_fmamk_f16 v117, v13, 0xb461, v100
	v_mul_f16_e32 v101, 0xb5c8, v57
	v_add_f16_e32 v69, v69, v70
	v_fma_f16 v70, v39, 0x39e9, -v96
	v_mul_f16_e32 v127, 0x3836, v48
	v_fmamk_f16 v112, v67, 0xbbb2, v116
	v_add_f16_e32 v118, v108, v117
	v_fmamk_f16 v119, v15, 0x3b76, v101
	v_add_f16_e32 v69, v69, v70
	v_fma_f16 v70, v34, 0xb461, -v126
	v_mul_f16_e32 v117, 0xb836, v60
	v_fma_f16 v120, v35, 0xbacd, -v127
	v_mul_f16_e32 v128, 0x3964, v52
	v_add_f16_e32 v119, v118, v119
	v_add_f16_sdwa v70, v0, v70 dst_sel:DWORD dst_unused:UNUSED_PAD src0_sel:WORD_1 src1_sel:DWORD
	v_fmamk_f16 v121, v21, 0xbacd, v117
	v_mul_f16_e32 v118, 0x3bf7, v61
	v_add_f16_e32 v68, v68, v112
	v_fma_f16 v112, v36, 0x39e9, -v128
	v_add_f16_e32 v70, v70, v120
	v_mul_f16_e32 v129, 0xbb29, v56
	v_add_f16_e32 v119, v119, v121
	v_fmamk_f16 v121, v29, 0x2de8, v118
	v_mul_f16_e32 v120, 0xb964, v65
	v_add_f16_e32 v70, v70, v112
	v_fma_f16 v112, v37, 0x3722, -v129
	v_mul_f16_e32 v130, 0xb1e1, v58
	v_mul_f16_e32 v97, 0xb1e1, v64
	v_add_f16_e32 v119, v119, v121
	v_fmamk_f16 v143, v31, 0x39e9, v120
	v_mul_f16_e32 v121, 0xb1e1, v66
	v_add_f16_e32 v70, v70, v112
	v_fma_f16 v112, v38, 0xbbdd, -v130
	v_mul_f16_e32 v131, 0x3bf7, v63
	v_fma_f16 v123, v40, 0xbbdd, -v97
	v_mul_f16_e32 v108, 0x3b29, v59
	v_add_f16_e32 v143, v119, v143
	v_fmamk_f16 v144, v32, 0xbbdd, v121
	v_add_f16_e32 v70, v70, v112
	v_fma_f16 v112, v39, 0x2de8, -v131
	v_mul_f16_e32 v119, 0xb5c8, v64
	v_add_f16_e32 v69, v69, v123
	v_fma_f16 v145, v41, 0x3722, -v108
	v_mul_f16_e32 v123, 0x3b29, v67
	v_add_f16_e32 v143, v143, v144
	v_add_f16_e32 v70, v70, v112
	v_fma_f16 v144, v40, 0x3b76, -v119
	v_mul_f16_e32 v112, 0xba62, v59
	v_fmamk_f16 v146, v33, 0x3722, v123
	v_add_f16_e32 v69, v69, v145
	v_mul_f16_e32 v145, 0x2de8, v7
	v_add_f16_e32 v144, v70, v144
	v_fma_f16 v147, v41, 0xb8d2, -v112
	v_add_f16_e32 v70, v143, v146
	v_mul_f16_e32 v143, 0xbbdd, v13
	v_add_f16_e32 v145, v71, v145
	v_mul_f16_e32 v146, 0x2de8, v34
	v_add_f16_e32 v71, v144, v147
	v_mul_f16_e32 v144, 0xbbdd, v35
	v_add_f16_e32 v143, v75, v143
	v_add_f16_e32 v145, v0, v145
	v_sub_f16_e32 v75, v146, v72
	v_mul_f16_e32 v72, 0xb461, v15
	v_mul_f16_e32 v146, 0xb461, v36
	v_sub_f16_e32 v74, v144, v74
	v_mul_f16_e32 v144, 0x3722, v34
	v_add_f16_e32 v143, v145, v143
	v_add_f16_e32 v79, v79, v72
	v_sub_f16_e32 v72, v146, v80
	v_mul_f16_e32 v80, 0x3b76, v21
	v_mul_f16_e32 v145, 0xb8d2, v35
	v_sub_f16_e32 v73, v144, v73
	v_add_f16_e32 v79, v143, v79
	v_mul_f16_e32 v143, 0x3b76, v37
	v_add_f16_e32 v80, v94, v80
	v_sub_f16_e32 v94, v145, v76
	v_add_f16_sdwa v73, v0, v73 dst_sel:DWORD dst_unused:UNUSED_PAD src0_sel:WORD_1 src1_sel:DWORD
	v_mul_f16_e32 v144, 0xbbdd, v36
	v_sub_f16_e32 v76, v143, v93
	v_mul_f16_e32 v93, 0x3722, v29
	v_add_f16_e32 v79, v79, v80
	v_add_f16_e32 v94, v73, v94
	v_sub_f16_e32 v77, v144, v77
	v_mul_f16_e32 v144, 0xb461, v37
	v_add_f16_e32 v80, v98, v93
	v_mul_f16_e32 v93, 0x39e9, v38
	v_fmac_f16_e32 v102, 0xb8d2, v34
	v_add_f16_e32 v77, v94, v77
	v_sub_f16_e32 v78, v144, v78
	v_mul_f16_e32 v94, 0xbacd, v31
	v_add_f16_e32 v79, v79, v80
	v_mul_f16_e32 v80, 0xbacd, v39
	v_sub_f16_e32 v81, v93, v81
	v_add_f16_e32 v78, v77, v78
	v_add_f16_e32 v93, v136, v94
	v_mul_f16_e32 v94, 0x3b76, v39
	v_sub_f16_e32 v77, v80, v137
	v_mul_f16_e32 v80, 0xb8d2, v32
	v_add_f16_e32 v81, v78, v81
	v_add_f16_e32 v79, v79, v93
	v_sub_f16_e32 v94, v94, v134
	v_mul_f16_e32 v93, 0x2de8, v40
	v_add_f16_sdwa v102, v0, v102 dst_sel:DWORD dst_unused:UNUSED_PAD src0_sel:WORD_1 src1_sel:DWORD
	v_fmac_f16_e32 v90, 0xb461, v35
	v_add_f16_e32 v80, v138, v80
	v_add_f16_e32 v81, v81, v94
	v_mul_f16_e32 v94, 0x39e9, v33
	v_sub_f16_e32 v93, v93, v135
	v_mul_f16_e32 v98, 0xbacd, v41
	v_add_f16_e32 v90, v102, v90
	v_fmac_f16_e32 v91, 0x3b76, v36
	v_add_f16_e32 v79, v79, v80
	v_add_f16_e32 v94, v142, v94
	;; [unrolled: 1-line block ×3, first 2 shown]
	v_sub_f16_e32 v93, v98, v140
	v_add_f16_e32 v90, v90, v91
	v_fmac_f16_e32 v92, 0xbacd, v37
	v_mul_f16_e32 v143, 0x3722, v38
	v_mul_f16_e32 v98, 0x3722, v7
	v_add_f16_e32 v79, v79, v94
	v_mul_f16_e32 v94, 0xb8d2, v13
	v_add_f16_e32 v81, v81, v93
	v_mul_f16_e32 v93, 0xbbdd, v15
	v_mul_f16_e32 v134, 0xb964, v55
	v_fma_f16 v113, v7, 0xb8d2, -v113
	v_fmac_f16_e32 v126, 0xb461, v34
	v_add_f16_e32 v90, v90, v92
	v_fmac_f16_e32 v95, 0x2de8, v38
	v_sub_f16_e32 v73, v143, v133
	v_add_f16_e32 v84, v84, v98
	v_mul_f16_e32 v133, 0xb461, v21
	v_add_f16_e32 v98, v82, v94
	v_mul_f16_e32 v82, 0x39e9, v29
	v_add_f16_e32 v93, v83, v93
	v_fmamk_f16 v83, v7, 0x39e9, v134
	v_mul_f16_e32 v136, 0xbbf7, v54
	v_add_f16_e32 v102, v0, v113
	v_fma_f16 v100, v13, 0xb461, -v100
	v_add_f16_sdwa v113, v0, v126 dst_sel:DWORD dst_unused:UNUSED_PAD src0_sel:WORD_1 src1_sel:DWORD
	v_fmac_f16_e32 v127, 0xbacd, v35
	v_add_f16_e32 v90, v90, v95
	v_fmac_f16_e32 v96, 0x39e9, v39
	v_add_f16_e32 v94, v85, v133
	v_add_f16_e32 v85, v86, v82
	;; [unrolled: 1-line block ×3, first 2 shown]
	v_fmamk_f16 v86, v13, 0x2de8, v136
	v_mul_f16_e32 v133, 0x2de8, v32
	v_mul_f16_e32 v137, 0xb5c8, v44
	v_add_f16_e32 v91, v102, v100
	v_fma_f16 v100, v15, 0x3b76, -v101
	v_add_f16_e32 v101, v113, v127
	v_fmac_f16_e32 v128, 0x39e9, v36
	v_add_f16_e32 v90, v90, v96
	v_fmac_f16_e32 v97, 0xbbdd, v40
	v_mul_f16_e32 v44, 0xb964, v44
	v_add_f16_e32 v86, v83, v86
	v_add_f16_e32 v83, v88, v133
	v_mul_f16_e32 v133, 0xb964, v48
	v_add_f16_e32 v91, v91, v100
	v_add_f16_e32 v100, v101, v128
	v_fmac_f16_e32 v129, 0x3722, v37
	v_add_f16_e32 v90, v90, v97
	v_fma_f16 v97, v34, 0x39e9, -v44
	v_fmac_f16_e32 v44, 0x39e9, v34
	v_mul_f16_e32 v48, 0xbbf7, v48
	v_mul_f16_e32 v135, 0x3b76, v31
	v_mul_f16_e32 v142, 0xbb29, v52
	v_add_f16_e32 v95, v100, v129
	v_add_f16_sdwa v44, v0, v44 dst_sel:DWORD dst_unused:UNUSED_PAD src0_sel:WORD_1 src1_sel:DWORD
	v_fma_f16 v100, v35, 0x2de8, -v48
	v_fmac_f16_e32 v48, 0x2de8, v35
	v_mul_f16_e32 v52, 0xba62, v52
	v_mul_f16_e32 v80, 0x39e9, v41
	v_add_f16_e32 v82, v89, v135
	v_mul_f16_e32 v89, 0xba62, v57
	v_mul_f16_e32 v144, 0xbbf7, v56
	v_add_f16_e32 v44, v44, v48
	v_fma_f16 v48, v36, 0xb8d2, -v52
	v_fmac_f16_e32 v52, 0xb8d2, v36
	v_mul_f16_e32 v56, 0xb1e1, v56
	v_sub_f16_e32 v80, v80, v139
	v_fmamk_f16 v138, v15, 0xb8d2, v89
	v_mul_f16_e32 v139, 0xb1e1, v60
	v_mul_f16_e32 v146, 0xbbb2, v58
	v_add_f16_e32 v44, v44, v52
	v_fma_f16 v52, v37, 0xbbdd, -v56
	v_fmac_f16_e32 v56, 0xbbdd, v37
	v_mul_f16_e32 v58, 0x3836, v58
	v_pk_add_f16 v30, v0, v30
	v_mul_f16_e32 v78, 0xb8d2, v40
	v_fma_f16 v88, v34, 0x3b76, -v137
	v_add_f16_e32 v86, v86, v138
	v_fmamk_f16 v138, v21, 0xbbdd, v139
	v_mul_f16_e32 v140, 0x3836, v61
	v_mul_f16_e32 v148, 0xba62, v63
	v_add_f16_e32 v44, v44, v56
	v_fma_f16 v56, v38, 0xbacd, -v58
	v_fmac_f16_e32 v58, 0xbacd, v38
	v_mul_f16_e32 v63, 0x3bb2, v63
	v_pk_add_f16 v28, v30, v28
	v_sub_f16_e32 v78, v78, v141
	v_add_f16_sdwa v88, v0, v88 dst_sel:DWORD dst_unused:UNUSED_PAD src0_sel:WORD_1 src1_sel:DWORD
	v_fma_f16 v141, v35, 0x39e9, -v133
	v_add_f16_e32 v86, v86, v138
	v_fmamk_f16 v138, v29, 0xbacd, v140
	v_mul_f16_e32 v143, 0x3bb2, v65
	v_add_f16_e32 v44, v44, v58
	v_fma_f16 v58, v39, 0xb461, -v63
	v_fmac_f16_e32 v63, 0xb461, v39
	v_fma_f16 v101, v7, 0x39e9, -v134
	v_pk_add_f16 v27, v28, v27
	v_add_f16_e32 v88, v88, v141
	v_fma_f16 v141, v36, 0x3722, -v142
	v_add_f16_e32 v86, v86, v138
	v_fmamk_f16 v138, v31, 0xb461, v143
	v_mul_f16_e32 v145, 0x3b29, v66
	v_add_f16_e32 v44, v44, v63
	v_add_f16_e32 v63, v0, v101
	v_fma_f16 v101, v13, 0x2de8, -v136
	v_pk_add_f16 v26, v27, v26
	v_add_f16_e32 v88, v88, v141
	v_fma_f16 v141, v37, 0x2de8, -v144
	v_add_f16_e32 v86, v86, v138
	v_fmamk_f16 v138, v32, 0x3722, v145
	v_add_f16_e32 v63, v63, v101
	v_fma_f16 v89, v15, 0xb8d2, -v89
	v_fmac_f16_e32 v137, 0x3b76, v34
	v_pk_add_f16 v22, v26, v22
	v_mul_f16_e32 v135, 0xbacd, v33
	v_mul_f16_e32 v147, 0x35c8, v67
	v_add_f16_e32 v88, v88, v141
	v_fma_f16 v141, v38, 0xb461, -v146
	v_add_f16_e32 v86, v86, v138
	v_mul_f16_e32 v138, 0xb5c8, v55
	v_add_f16_e32 v63, v63, v89
	v_fma_f16 v28, v21, 0xbbdd, -v139
	v_fmac_f16_e32 v133, 0x39e9, v35
	v_add_f16_sdwa v27, v0, v137 dst_sel:DWORD dst_unused:UNUSED_PAD src0_sel:WORD_1 src1_sel:DWORD
	v_pk_add_f16 v20, v22, v20
	v_fmamk_f16 v149, v33, 0x3b76, v147
	v_add_f16_e32 v88, v88, v141
	v_fma_f16 v141, v39, 0xb8d2, -v148
	v_add_f16_e32 v87, v87, v135
	v_fmamk_f16 v135, v7, 0x3b76, v138
	v_mul_f16_e32 v150, 0xb964, v54
	v_fmac_f16_e32 v103, 0xbacd, v34
	v_add_f16_e32 v28, v63, v28
	v_fma_f16 v34, v29, 0xbacd, -v140
	v_add_f16_e32 v26, v27, v133
	v_fmac_f16_e32 v142, 0x3722, v36
	v_pk_add_f16 v17, v20, v17
	v_add_f16_e32 v86, v86, v149
	v_add_f16_e32 v88, v88, v141
	;; [unrolled: 1-line block ×3, first 2 shown]
	v_fmamk_f16 v141, v13, 0x39e9, v150
	v_mul_f16_e32 v149, 0xbb29, v57
	v_add_f16_sdwa v103, v0, v103 dst_sel:DWORD dst_unused:UNUSED_PAD src0_sel:WORD_1 src1_sel:DWORD
	v_fmac_f16_e32 v99, 0x3722, v35
	v_add_f16_e32 v27, v28, v34
	v_fma_f16 v28, v31, 0xb461, -v143
	v_fma_f16 v22, v7, 0x3b76, -v138
	v_add_f16_e32 v26, v26, v142
	v_fmac_f16_e32 v144, 0x2de8, v37
	v_pk_add_f16 v17, v17, v19
	v_add_f16_e32 v135, v135, v141
	v_fmamk_f16 v141, v15, 0x3722, v149
	v_mul_f16_e32 v152, 0xbbf7, v60
	v_add_f16_e32 v99, v103, v99
	v_fmac_f16_e32 v106, 0x2de8, v36
	v_add_f16_e32 v27, v27, v28
	v_add_f16_e32 v20, v0, v22
	v_fma_f16 v22, v13, 0x39e9, -v150
	v_add_f16_e32 v26, v26, v144
	v_fma_f16 v28, v32, 0x3722, -v145
	v_fmac_f16_e32 v146, 0xb461, v38
	v_pk_add_f16 v17, v17, v18
	v_mul_f16_e32 v151, 0xb836, v64
	v_add_f16_e32 v103, v135, v141
	v_fmamk_f16 v135, v21, 0x2de8, v152
	v_mul_f16_e32 v141, 0xbbb2, v61
	v_add_f16_e32 v99, v99, v106
	v_fmac_f16_e32 v114, 0xb8d2, v37
	v_add_f16_e32 v19, v20, v22
	v_fma_f16 v20, v15, 0x3722, -v149
	v_add_f16_e32 v22, v27, v28
	v_add_f16_e32 v18, v26, v146
	v_fma_f16 v26, v33, 0x3b76, -v147
	v_pk_add_f16 v16, v16, v17
	v_fma_f16 v153, v40, 0xbacd, -v151
	v_add_f16_e32 v103, v103, v135
	v_fmamk_f16 v106, v29, 0xb461, v141
	v_mul_f16_e32 v135, 0xba62, v65
	v_add_f16_e32 v99, v99, v114
	v_fmac_f16_e32 v132, 0x3b76, v38
	v_add_f16_e32 v19, v19, v20
	v_fma_f16 v20, v21, 0x2de8, -v152
	v_add_f16_e32 v17, v22, v26
	v_pack_b32_f16 v22, v84, v97
	v_pk_add_f16 v14, v14, v16
	v_add_f16_e32 v88, v88, v153
	v_mul_f16_e32 v153, 0xb1e1, v59
	v_add_f16_e32 v103, v103, v106
	v_fmamk_f16 v106, v31, 0xb8d2, v135
	v_mul_f16_e32 v114, 0xb836, v66
	v_add_f16_e32 v99, v99, v132
	v_fmac_f16_e32 v122, 0xbbdd, v39
	v_fma_f16 v92, v21, 0xbacd, -v117
	v_add_f16_e32 v19, v19, v20
	v_fma_f16 v16, v29, 0xb461, -v141
	v_pack_b32_f16 v20, v98, v100
	v_pk_add_f16 v22, v0, v22
	v_pk_add_f16 v12, v12, v14
	v_fma_f16 v154, v41, 0xbbdd, -v153
	v_add_f16_e32 v103, v103, v106
	v_fmamk_f16 v106, v32, 0xbacd, v114
	v_mul_f16_e32 v155, 0xb836, v55
	v_add_f16_e32 v99, v99, v122
	v_fmac_f16_e32 v124, 0x39e9, v40
	v_add_f16_e32 v91, v91, v92
	v_fma_f16 v92, v29, 0x2de8, -v118
	v_fmac_f16_e32 v130, 0xbbdd, v38
	v_mul_f16_e32 v55, 0xbbb2, v55
	v_add_f16_e32 v16, v19, v16
	v_pk_add_f16 v14, v22, v20
	v_fma_f16 v34, v31, 0xb8d2, -v135
	v_pack_b32_f16 v38, v93, v48
	v_pk_add_f16 v11, v11, v12
	v_mul_f16_e32 v132, 0xb1e1, v67
	v_add_f16_e32 v122, v88, v154
	v_add_f16_e32 v88, v103, v106
	v_pack_b32_f16 v103, v155, v43
	v_add_f16_e32 v99, v99, v124
	v_mul_f16_e32 v124, 0x3b29, v54
	v_add_f16_e32 v91, v91, v92
	v_fma_f16 v92, v31, 0x39e9, -v120
	v_add_f16_e32 v95, v95, v130
	v_fmac_f16_e32 v131, 0x2de8, v39
	v_mul_f16_e32 v54, 0x3836, v54
	v_fmamk_f16 v19, v7, 0xb461, v55
	v_add_f16_e32 v16, v16, v34
	v_fma_f16 v34, v32, 0xbacd, -v114
	v_pk_add_f16 v12, v14, v38
	v_pack_b32_f16 v14, v94, v52
	v_pk_add_f16 v10, v10, v11
	v_fmamk_f16 v106, v33, 0xbbdd, v132
	v_fmac_f16_e32 v125, 0xb461, v41
	v_pk_add_f16 v103, v110, v103 neg_lo:[0,1] neg_hi:[0,1]
	v_mul_f16_e32 v110, 0xbbf7, v57
	v_pk_fma_f16 v154, 0xbbdd, v7, v43 op_sel:[0,0,1] op_sel_hi:[0,1,0]
	v_pack_b32_f16 v124, v124, v42
	v_add_f16_e32 v91, v91, v92
	v_fma_f16 v92, v32, 0xbbdd, -v121
	v_add_f16_e32 v95, v95, v131
	v_fmac_f16_e32 v119, 0x3b76, v40
	v_mul_f16_e32 v57, 0x3964, v57
	v_mul_f16_e32 v64, 0x3b29, v64
	v_fmamk_f16 v20, v13, 0xbacd, v54
	v_add_f16_e32 v16, v16, v34
	v_fma_f16 v11, v33, 0xbbdd, -v132
	v_pk_add_f16 v12, v12, v14
	v_pack_b32_f16 v14, v85, v56
	v_pk_add_f16 v4, v4, v10
	v_pack_b32_f16 v10, v19, v75
	v_add_f16_e32 v106, v88, v106
	v_add_f16_e32 v88, v99, v125
	v_pack_b32_f16 v99, v110, v45
	v_bfi_b32 v103, 0xffff, v103, v154
	v_pk_add_f16 v107, v107, v124 neg_lo:[0,1] neg_hi:[0,1]
	v_mul_f16_e32 v110, 0x3a62, v60
	v_pk_fma_f16 v124, 0x3b76, v13, v42 op_sel:[0,0,1] op_sel_hi:[0,1,0]
	v_add_f16_e32 v91, v91, v92
	v_fma_f16 v92, v33, 0x3722, -v123
	v_add_f16_e32 v95, v95, v119
	v_fmac_f16_e32 v112, 0xb8d2, v41
	v_fma_f16 v96, v7, 0xb461, -v55
	v_mul_f16_e32 v60, 0xbb29, v60
	v_fma_f16 v102, v40, 0x3722, -v64
	v_fmamk_f16 v22, v15, 0x39e9, v57
	v_add_f16_e32 v16, v16, v11
	v_pk_add_f16 v11, v12, v14
	v_pack_b32_f16 v12, v82, v58
	v_pk_add_f16 v4, v9, v4
	v_pk_add_f16 v9, v0, v10
	v_pack_b32_f16 v10, v20, v74
	v_pk_fma_f16 v7, 0xbbdd, v7, v43 op_sel:[0,0,1] op_sel_hi:[0,1,0] neg_lo:[0,0,1] neg_hi:[0,0,1]
	v_pk_add_f16 v99, v109, v99 neg_lo:[0,1] neg_hi:[0,1]
	v_mul_f16_e32 v109, 0xb5c8, v61
	v_pk_fma_f16 v125, 0xbacd, v15, v45 op_sel:[0,0,1] op_sel_hi:[0,1,0]
	v_pack_b32_f16 v110, v110, v46
	v_bfi_b32 v107, 0xffff, v107, v124
	v_add_f16_e32 v91, v91, v92
	v_add_f16_e32 v92, v95, v112
	;; [unrolled: 1-line block ×3, first 2 shown]
	v_fma_f16 v96, v13, 0xbacd, -v54
	v_mul_f16_e32 v61, 0xb1e1, v61
	v_fmamk_f16 v26, v21, 0x3722, v60
	v_pk_add_f16 v11, v11, v12
	v_pack_b32_f16 v12, v83, v102
	v_pk_add_f16 v9, v9, v10
	v_pack_b32_f16 v10, v22, v72
	v_pk_add_f16 v7, v0, v7
	v_pk_fma_f16 v13, 0x3b76, v13, v42 op_sel:[0,0,1] op_sel_hi:[0,1,0] neg_lo:[0,0,1] neg_hi:[0,0,1]
	v_pk_add_f16 v0, v0, v103
	v_mul_f16_e32 v154, 0xb1e1, v65
	v_pack_b32_f16 v109, v109, v47
	v_bfi_b32 v99, 0xffff, v99, v125
	v_pk_add_f16 v104, v104, v110 neg_lo:[0,1] neg_hi:[0,1]
	v_pk_fma_f16 v124, 0x39e9, v21, v46 op_sel:[0,0,1] op_sel_hi:[0,1,0]
	v_add_f16_e32 v95, v95, v96
	v_fma_f16 v96, v15, 0x39e9, -v57
	v_mul_f16_e32 v65, 0x3bf7, v65
	v_fmamk_f16 v27, v29, 0xbbdd, v61
	v_pk_add_f16 v11, v11, v12
	v_pk_add_f16 v9, v9, v10
	v_pack_b32_f16 v10, v26, v76
	v_pk_add_f16 v7, v7, v13
	v_pk_fma_f16 v12, 0xbacd, v15, v45 op_sel:[0,0,1] op_sel_hi:[0,1,0] neg_lo:[0,0,1] neg_hi:[0,0,1]
	v_pk_add_f16 v0, v0, v107
	v_pack_b32_f16 v110, v154, v49
	v_pk_add_f16 v105, v105, v109 neg_lo:[0,1] neg_hi:[0,1]
	v_pk_fma_f16 v109, 0xb8d2, v29, v47 op_sel:[0,0,1] op_sel_hi:[0,1,0]
	v_mul_f16_e32 v125, 0x3964, v66
	v_bfi_b32 v104, 0xffff, v104, v124
	v_add_f16_e32 v95, v95, v96
	v_fma_f16 v96, v21, 0x3722, -v60
	v_mul_f16_e32 v66, 0xb5c8, v66
	v_fmamk_f16 v28, v31, 0x2de8, v65
	v_pk_add_f16 v9, v9, v10
	v_pack_b32_f16 v10, v27, v73
	v_pk_add_f16 v7, v7, v12
	v_pk_fma_f16 v12, 0x39e9, v21, v46 op_sel:[0,0,1] op_sel_hi:[0,1,0] neg_lo:[0,0,1] neg_hi:[0,0,1]
	v_pk_add_f16 v0, v0, v99
	v_pk_add_f16 v110, v115, v110 neg_lo:[0,1] neg_hi:[0,1]
	v_mul_f16_e32 v115, 0xbbb2, v67
	v_pk_fma_f16 v154, 0x3722, v31, v49 op_sel:[0,0,1] op_sel_hi:[0,1,0]
	v_pack_b32_f16 v124, v125, v50
	v_bfi_b32 v105, 0xffff, v105, v109
	v_add_f16_e32 v95, v95, v96
	v_fma_f16 v96, v29, 0xbbdd, -v61
	v_mul_f16_e32 v67, 0xba62, v67
	v_fmac_f16_e32 v64, 0x3722, v40
	v_mul_f16_e32 v59, 0x35c8, v59
	v_fmamk_f16 v36, v32, 0x3b76, v66
	v_pk_add_f16 v9, v9, v10
	v_pack_b32_f16 v10, v28, v77
	v_pk_add_f16 v7, v7, v12
	v_pk_fma_f16 v12, 0xb8d2, v29, v47 op_sel:[0,0,1] op_sel_hi:[0,1,0] neg_lo:[0,0,1] neg_hi:[0,0,1]
	v_pk_add_f16 v0, v0, v104
	v_pack_b32_f16 v109, v115, v51
	v_bfi_b32 v110, 0xffff, v110, v154
	v_pk_add_f16 v111, v111, v124 neg_lo:[0,1] neg_hi:[0,1]
	v_pk_fma_f16 v115, 0xb461, v32, v50 op_sel:[0,0,1] op_sel_hi:[0,1,0]
	v_add_f16_e32 v95, v95, v96
	v_fma_f16 v96, v31, 0x2de8, -v65
	v_add_f16_e32 v44, v44, v64
	v_fma_f16 v64, v41, 0x3b76, -v59
	v_fmamk_f16 v37, v33, 0xb8d2, v67
	v_pk_add_f16 v9, v9, v10
	v_pack_b32_f16 v10, v36, v78
	v_pk_add_f16 v7, v7, v12
	v_pk_add_f16 v0, v0, v105
	v_pk_fma_f16 v12, 0x3722, v31, v49 op_sel:[0,0,1] op_sel_hi:[0,1,0] neg_lo:[0,0,1] neg_hi:[0,0,1]
	v_pk_add_f16 v109, v116, v109 neg_lo:[0,1] neg_hi:[0,1]
	v_pk_fma_f16 v116, 0x2de8, v33, v51 op_sel:[0,0,1] op_sel_hi:[0,1,0]
	v_bfi_b32 v111, 0xffff, v111, v115
	v_add_f16_e32 v95, v95, v96
	v_fma_f16 v96, v32, 0x3b76, -v66
	v_mad_u32_u24 v19, 0x44, v3, 0
	v_pack_b32_f16 v14, v106, v122
	v_pack_b32_f16 v13, v87, v64
	v_pk_add_f16 v9, v9, v10
	v_pack_b32_f16 v10, v37, v80
	v_pk_add_f16 v0, v0, v110
	v_pk_add_f16 v7, v7, v12
	v_pk_fma_f16 v12, 0xb461, v32, v50 op_sel:[0,0,1] op_sel_hi:[0,1,0] neg_lo:[0,0,1] neg_hi:[0,0,1]
	v_fmac_f16_e32 v148, 0xb8d2, v39
	v_bfi_b32 v109, 0xffff, v109, v116
	v_fmac_f16_e32 v108, 0x3722, v41
	v_add_f16_e32 v95, v95, v96
	v_fma_f16 v96, v33, 0xb8d2, -v67
	v_pk_add_f16 v11, v11, v13
	ds_write2_b32 v19, v4, v14 offset1:1
	v_pk_add_f16 v4, v9, v10
	v_pk_add_f16 v0, v0, v111
	;; [unrolled: 1-line block ×3, first 2 shown]
	v_pk_fma_f16 v9, 0x2de8, v33, v51 op_sel:[0,0,1] op_sel_hi:[0,1,0] neg_lo:[0,0,1] neg_hi:[0,0,1]
	v_fmac_f16_e32 v59, 0x3b76, v41
	v_add_f16_e32 v18, v18, v148
	v_fmac_f16_e32 v151, 0xbacd, v40
	v_add_f16_e32 v90, v90, v108
	v_add_f16_e32 v30, v95, v96
	v_bfi_b32 v13, 0xffff, v86, v11
	v_pack_b32_f16 v11, v11, v81
	v_pk_add_f16 v0, v0, v109
	v_pk_add_f16 v7, v7, v9
	v_add_f16_e32 v35, v44, v59
	v_add_f16_e32 v18, v18, v151
	v_fmac_f16_e32 v153, 0xbbdd, v41
	v_bfi_b32 v20, 0xffff, v79, v4
	v_pack_b32_f16 v4, v4, v71
	v_pack_b32_f16 v21, v68, v62
	v_pack_b32_f16 v22, v70, v69
	ds_write2_b32 v19, v13, v11 offset0:2 offset1:3
	v_alignbit_b32 v10, v0, v0, 16
	v_pack_b32_f16 v12, v90, v30
	v_pack_b32_f16 v11, v88, v91
	v_alignbit_b32 v9, v7, v7, 16
	v_pack_b32_f16 v16, v35, v16
	v_perm_b32 v14, v23, v25, 0x5040100
	v_perm_b32 v15, v17, v24, 0x5040100
	;; [unrolled: 1-line block ×3, first 2 shown]
	v_add_f16_e32 v18, v18, v153
	ds_write2_b32 v19, v20, v4 offset0:4 offset1:5
	ds_write2_b32 v19, v22, v21 offset0:6 offset1:7
	ds_write_b16 v19, v53 offset:32
	ds_write_b128 v19, v[9:12] offset:34
	ds_write_b128 v19, v[13:16] offset:50
	ds_write_b16 v19, v18 offset:66
.LBB0_13:
	s_or_b32 exec_lo, exec_lo, s1
	v_and_b32_e32 v0, 0xff, v3
	v_mov_b32_e32 v7, 12
	s_load_dwordx2 s[2:3], s[2:3], 0x0
	s_waitcnt lgkmcnt(0)
	s_barrier
	v_mul_lo_u16 v0, 0xf1, v0
	buffer_gl0_inv
	v_cmp_gt_u32_e64 s0, 17, v3
	v_lshrrev_b16 v4, 12, v0
	v_mul_lo_u16 v0, v4, 17
	v_sub_nc_u16 v11, v3, v0
	v_mul_u32_u24_sdwa v0, v11, v7 dst_sel:DWORD dst_unused:UNUSED_PAD src0_sel:BYTE_0 src1_sel:DWORD
	v_lshlrev_b32_e32 v0, 2, v0
	s_clause 0x2
	global_load_dwordx4 v[30:33], v0, s[8:9]
	global_load_dwordx4 v[34:37], v0, s[8:9] offset:16
	global_load_dwordx4 v[38:41], v0, s[8:9] offset:32
	v_lshl_add_u32 v0, v3, 2, 0
	ds_read2_b32 v[20:21], v0 offset0:204 offset1:255
	ds_read_b32 v48, v0 offset:2448
	ds_read2_b32 v[9:10], v0 offset1:51
	ds_read2_b32 v[26:27], v0 offset0:102 offset1:153
	v_add_nc_u32_e32 v12, 0x400, v0
	v_add_nc_u32_e32 v7, 0x600, v0
	ds_read2_b32 v[42:43], v12 offset0:50 offset1:101
	ds_read2_b32 v[44:45], v12 offset0:152 offset1:203
	;; [unrolled: 1-line block ×3, first 2 shown]
	s_waitcnt vmcnt(0) lgkmcnt(0)
	s_barrier
	buffer_gl0_inv
	v_lshrrev_b32_e32 v49, 16, v48
	v_lshrrev_b32_e32 v22, 16, v10
	;; [unrolled: 1-line block ×12, first 2 shown]
	v_mul_f16_sdwa v59, v30, v22 dst_sel:DWORD dst_unused:UNUSED_PAD src0_sel:WORD_1 src1_sel:DWORD
	v_mul_f16_sdwa v61, v31, v50 dst_sel:DWORD dst_unused:UNUSED_PAD src0_sel:WORD_1 src1_sel:DWORD
	v_mul_f16_sdwa v62, v31, v26 dst_sel:DWORD dst_unused:UNUSED_PAD src0_sel:WORD_1 src1_sel:DWORD
	v_mul_f16_sdwa v29, v33, v52 dst_sel:DWORD dst_unused:UNUSED_PAD src0_sel:WORD_1 src1_sel:DWORD
	v_mul_f16_sdwa v65, v33, v20 dst_sel:DWORD dst_unused:UNUSED_PAD src0_sel:WORD_1 src1_sel:DWORD
	v_fmac_f16_e32 v59, v30, v10
	v_mul_f16_sdwa v63, v32, v51 dst_sel:DWORD dst_unused:UNUSED_PAD src0_sel:WORD_1 src1_sel:DWORD
	v_fmac_f16_e32 v61, v31, v26
	v_fma_f16 v50, v31, v50, -v62
	v_fmac_f16_e32 v29, v33, v20
	v_fma_f16 v31, v33, v52, -v65
	v_add_f16_e32 v33, v59, v9
	v_mul_f16_sdwa v60, v30, v10 dst_sel:DWORD dst_unused:UNUSED_PAD src0_sel:WORD_1 src1_sel:DWORD
	v_mul_f16_sdwa v15, v56, v38 dst_sel:DWORD dst_unused:UNUSED_PAD src0_sel:DWORD src1_sel:WORD_1
	v_fmac_f16_e32 v63, v32, v27
	v_mul_f16_sdwa v28, v14, v34 dst_sel:DWORD dst_unused:UNUSED_PAD src0_sel:DWORD src1_sel:WORD_1
	v_add_f16_e32 v33, v33, v61
	v_mul_f16_sdwa v66, v21, v34 dst_sel:DWORD dst_unused:UNUSED_PAD src0_sel:DWORD src1_sel:WORD_1
	v_mul_f16_sdwa v19, v55, v37 dst_sel:DWORD dst_unused:UNUSED_PAD src0_sel:DWORD src1_sel:WORD_1
	;; [unrolled: 1-line block ×4, first 2 shown]
	v_fma_f16 v60, v30, v22, -v60
	v_fmac_f16_e32 v15, v45, v38
	v_add_f16_e32 v33, v33, v63
	v_mul_f16_sdwa v64, v32, v27 dst_sel:DWORD dst_unused:UNUSED_PAD src0_sel:WORD_1 src1_sel:DWORD
	v_mul_f16_sdwa v7, v53, v35 dst_sel:DWORD dst_unused:UNUSED_PAD src0_sel:DWORD src1_sel:WORD_1
	v_mul_f16_sdwa v68, v43, v36 dst_sel:DWORD dst_unused:UNUSED_PAD src0_sel:DWORD src1_sel:WORD_1
	;; [unrolled: 1-line block ×5, first 2 shown]
	v_fmac_f16_e32 v28, v21, v34
	v_fma_f16 v30, v14, v34, -v66
	v_fmac_f16_e32 v19, v44, v37
	v_fmac_f16_e32 v17, v47, v40
	v_fma_f16 v20, v49, v41, -v73
	v_add_f16_sdwa v34, v60, v9 dst_sel:DWORD dst_unused:UNUSED_PAD src0_sel:DWORD src1_sel:WORD_1
	v_add_f16_e32 v47, v29, v15
	v_sub_f16_e32 v49, v29, v15
	v_add_f16_e32 v29, v33, v29
	v_mul_f16_sdwa v13, v54, v36 dst_sel:DWORD dst_unused:UNUSED_PAD src0_sel:DWORD src1_sel:WORD_1
	v_mul_f16_sdwa v70, v45, v38 dst_sel:DWORD dst_unused:UNUSED_PAD src0_sel:DWORD src1_sel:WORD_1
	v_mul_f16_sdwa v16, v57, v39 dst_sel:DWORD dst_unused:UNUSED_PAD src0_sel:DWORD src1_sel:WORD_1
	v_fma_f16 v32, v32, v51, -v64
	v_fmac_f16_e32 v7, v42, v35
	v_fma_f16 v14, v54, v36, -v68
	v_fma_f16 v22, v57, v39, -v71
	v_add_f16_e32 v52, v28, v19
	v_sub_f16_e32 v54, v28, v19
	v_add_f16_e32 v34, v34, v50
	v_add_f16_e32 v28, v29, v28
	v_mul_f16_sdwa v67, v42, v35 dst_sel:DWORD dst_unused:UNUSED_PAD src0_sel:DWORD src1_sel:WORD_1
	v_mul_f16_sdwa v69, v44, v37 dst_sel:DWORD dst_unused:UNUSED_PAD src0_sel:DWORD src1_sel:WORD_1
	v_fmac_f16_e32 v13, v43, v36
	v_fma_f16 v26, v56, v38, -v70
	v_fmac_f16_e32 v16, v46, v39
	v_fmac_f16_e32 v18, v48, v41
	v_fma_f16 v21, v58, v40, -v72
	v_add_f16_e32 v36, v60, v20
	v_sub_f16_e32 v38, v60, v20
	v_add_f16_e32 v44, v32, v22
	v_sub_f16_e32 v46, v32, v22
	v_add_f16_e32 v32, v34, v32
	v_add_f16_e32 v28, v28, v7
	v_fma_f16 v10, v53, v35, -v67
	v_fma_f16 v27, v55, v37, -v69
	v_add_f16_e32 v35, v59, v18
	v_sub_f16_e32 v37, v59, v18
	v_add_f16_e32 v39, v61, v17
	v_add_f16_e32 v40, v50, v21
	v_sub_f16_e32 v41, v61, v17
	v_sub_f16_e32 v42, v50, v21
	v_add_f16_e32 v48, v31, v26
	v_sub_f16_e32 v51, v31, v26
	v_mul_f16_e32 v50, 0xb770, v38
	v_mul_f16_e32 v56, 0x3b15, v36
	;; [unrolled: 1-line block ×8, first 2 shown]
	v_add_f16_e32 v31, v32, v31
	v_add_f16_e32 v28, v28, v13
	;; [unrolled: 1-line block ×3, first 2 shown]
	v_sub_f16_e32 v45, v63, v16
	v_mul_f16_e32 v64, 0xb94e, v38
	v_mul_f16_e32 v65, 0xb9fd, v36
	;; [unrolled: 1-line block ×12, first 2 shown]
	v_fmamk_f16 v34, v35, 0x3b15, v50
	v_fmamk_f16 v63, v37, 0x3770, v56
	v_fma_f16 v50, v35, 0x3b15, -v50
	v_fmac_f16_e32 v56, 0xb770, v37
	v_fmamk_f16 v106, v35, 0x388b, v57
	v_fmamk_f16 v107, v37, 0x3a95, v58
	v_fma_f16 v57, v35, 0x388b, -v57
	v_fmac_f16_e32 v58, 0xba95, v37
	;; [unrolled: 4-line block ×3, first 2 shown]
	v_fmamk_f16 v110, v35, 0xb5ac, v61
	v_fmamk_f16 v111, v37, 0x3b7b, v62
	v_fma_f16 v61, v35, 0xb5ac, -v61
	v_add_f16_e32 v29, v31, v30
	v_add_f16_e32 v19, v28, v19
	v_mul_f16_e32 v75, 0x2fb7, v40
	v_mul_f16_e32 v40, 0x3b15, v40
	v_mul_f16_e32 v76, 0xbbf1, v46
	v_mul_f16_e32 v80, 0x3b7b, v46
	v_mul_f16_e32 v81, 0xb5ac, v44
	v_mul_f16_e32 v82, 0x3770, v46
	v_mul_f16_e32 v83, 0x3b15, v44
	v_fmac_f16_e32 v62, 0xbb7b, v37
	v_fmamk_f16 v112, v35, 0xb9fd, v64
	v_fmamk_f16 v113, v37, 0x394e, v65
	v_fma_f16 v64, v35, 0xb9fd, -v64
	v_fmac_f16_e32 v65, 0xb94e, v37
	v_fmamk_f16 v114, v35, 0xbbc4, v38
	v_fmamk_f16 v115, v37, 0x33a8, v36
	v_fma_f16 v35, v35, 0xbbc4, -v38
	;; [unrolled: 4-line block ×3, first 2 shown]
	v_fmamk_f16 v116, v39, 0xb5ac, v68
	v_fmamk_f16 v117, v41, 0x3b7b, v69
	v_fma_f16 v68, v39, 0xb5ac, -v68
	v_fmac_f16_e32 v69, 0xbb7b, v41
	v_fmamk_f16 v118, v39, 0xbbc4, v70
	v_fmamk_f16 v119, v41, 0x33a8, v71
	v_fma_f16 v70, v39, 0xbbc4, -v70
	v_fmac_f16_e32 v71, 0xb3a8, v41
	v_fmamk_f16 v120, v39, 0xb9fd, v72
	v_fmamk_f16 v121, v41, 0xb94e, v73
	v_fma_f16 v72, v39, 0xb9fd, -v72
	v_add_f16_e32 v32, v34, v9
	v_add_f16_sdwa v33, v63, v9 dst_sel:DWORD dst_unused:UNUSED_PAD src0_sel:DWORD src1_sel:WORD_1
	v_add_f16_e32 v34, v50, v9
	v_add_f16_sdwa v50, v56, v9 dst_sel:DWORD dst_unused:UNUSED_PAD src0_sel:DWORD src1_sel:WORD_1
	;; [unrolled: 2-line block ×4, first 2 shown]
	v_add_f16_sdwa v107, v109, v9 dst_sel:DWORD dst_unused:UNUSED_PAD src0_sel:DWORD src1_sel:WORD_1
	v_add_f16_e32 v59, v59, v9
	v_add_f16_sdwa v60, v60, v9 dst_sel:DWORD dst_unused:UNUSED_PAD src0_sel:DWORD src1_sel:WORD_1
	v_add_f16_sdwa v109, v111, v9 dst_sel:DWORD dst_unused:UNUSED_PAD src0_sel:DWORD src1_sel:WORD_1
	v_add_f16_e32 v61, v61, v9
	v_add_f16_e32 v29, v29, v10
	;; [unrolled: 1-line block ×4, first 2 shown]
	v_sub_f16_e32 v55, v30, v27
	v_mul_f16_e32 v74, 0x3bf1, v42
	v_mul_f16_e32 v42, 0x3770, v42
	;; [unrolled: 1-line block ×9, first 2 shown]
	v_fmac_f16_e32 v67, 0xba95, v41
	v_fmac_f16_e32 v73, 0x394e, v41
	v_fmamk_f16 v123, v41, 0xbbf1, v75
	v_fmac_f16_e32 v75, 0x3bf1, v41
	v_fmamk_f16 v125, v41, 0xb770, v40
	;; [unrolled: 2-line block ×3, first 2 shown]
	v_fmamk_f16 v128, v43, 0xb5ac, v80
	v_fmamk_f16 v129, v45, 0xbb7b, v81
	v_fma_f16 v80, v43, 0xb5ac, -v80
	v_fmamk_f16 v130, v43, 0x3b15, v82
	v_fmamk_f16 v131, v45, 0xb770, v83
	v_fma_f16 v82, v43, 0x3b15, -v82
	v_add_f16_e32 v106, v108, v9
	v_add_f16_e32 v108, v110, v9
	v_add_f16_sdwa v62, v62, v9 dst_sel:DWORD dst_unused:UNUSED_PAD src0_sel:DWORD src1_sel:WORD_1
	v_add_f16_e32 v110, v112, v9
	v_add_f16_sdwa v111, v113, v9 dst_sel:DWORD dst_unused:UNUSED_PAD src0_sel:DWORD src1_sel:WORD_1
	;; [unrolled: 2-line block ×5, first 2 shown]
	v_add_f16_e32 v30, v37, v32
	v_add_f16_e32 v31, v38, v33
	;; [unrolled: 1-line block ×13, first 2 shown]
	v_mul_f16_e32 v78, 0xb3a8, v46
	v_mul_f16_e32 v84, 0xba95, v46
	v_mul_f16_e32 v46, 0xb94e, v46
	v_mul_f16_e32 v87, 0xb5ac, v48
	v_mul_f16_e32 v90, 0x3770, v51
	v_mul_f16_e32 v102, 0x33a8, v55
	v_mul_f16_e32 v103, 0xbbc4, v53
	v_fmamk_f16 v122, v39, 0x2fb7, v74
	v_fma_f16 v74, v39, 0x2fb7, -v74
	v_fmamk_f16 v124, v39, 0x3b15, v42
	v_fma_f16 v39, v39, 0x3b15, -v42
	v_fmamk_f16 v42, v45, 0x3bf1, v77
	v_fmac_f16_e32 v77, 0xbbf1, v45
	v_fmamk_f16 v127, v45, 0x33a8, v79
	v_fmac_f16_e32 v79, 0xb3a8, v45
	v_fmac_f16_e32 v81, 0x3b7b, v45
	;; [unrolled: 1-line block ×3, first 2 shown]
	v_fmamk_f16 v133, v45, 0x3a95, v85
	v_fmac_f16_e32 v85, 0xba95, v45
	v_fmamk_f16 v135, v45, 0x394e, v44
	v_fmac_f16_e32 v44, 0xb94e, v45
	v_fmamk_f16 v45, v47, 0xb5ac, v86
	v_fmamk_f16 v140, v47, 0x2fb7, v92
	;; [unrolled: 1-line block ×3, first 2 shown]
	v_fma_f16 v92, v47, 0x2fb7, -v92
	v_add_f16_e32 v62, v73, v62
	v_add_f16_e32 v9, v40, v9
	;; [unrolled: 1-line block ×9, first 2 shown]
	v_mul_f16_e32 v88, 0x394e, v51
	v_mul_f16_e32 v89, 0xb9fd, v48
	;; [unrolled: 1-line block ×9, first 2 shown]
	v_fma_f16 v76, v43, 0x2fb7, -v76
	v_fmamk_f16 v126, v43, 0xbbc4, v78
	v_fma_f16 v78, v43, 0xbbc4, -v78
	v_fmamk_f16 v132, v43, 0x388b, v84
	;; [unrolled: 2-line block ×4, first 2 shown]
	v_fmamk_f16 v138, v47, 0x3b15, v90
	v_fma_f16 v90, v47, 0x3b15, -v90
	v_fmac_f16_e32 v93, 0xbbf1, v49
	v_fmamk_f16 v150, v52, 0xbbc4, v102
	v_fmamk_f16 v151, v54, 0xb3a8, v103
	v_fma_f16 v102, v52, 0xbbc4, -v102
	v_add_f16_e32 v33, v67, v50
	v_add_f16_e32 v66, v123, v111
	;; [unrolled: 1-line block ×14, first 2 shown]
	v_sub_f16_e32 v18, v10, v14
	v_mul_f16_e32 v97, 0xb9fd, v53
	v_mul_f16_e32 v98, 0x3bf1, v55
	;; [unrolled: 1-line block ×8, first 2 shown]
	v_fma_f16 v86, v47, 0xb5ac, -v86
	v_fmac_f16_e32 v87, 0xbb7b, v49
	v_fmamk_f16 v136, v47, 0xb9fd, v88
	v_fmamk_f16 v137, v49, 0xb94e, v89
	v_fma_f16 v88, v47, 0xb9fd, -v88
	v_fmac_f16_e32 v89, 0x394e, v49
	v_fmamk_f16 v139, v49, 0xb770, v91
	v_fmac_f16_e32 v91, 0x3770, v49
	v_fmamk_f16 v142, v47, 0xbbc4, v94
	v_fmamk_f16 v143, v49, 0xb3a8, v95
	v_fma_f16 v94, v47, 0xbbc4, -v94
	v_fmac_f16_e32 v95, 0x33a8, v49
	v_fmamk_f16 v144, v47, 0x388b, v51
	v_fmamk_f16 v145, v49, 0xba95, v48
	v_fma_f16 v47, v47, 0x388b, -v51
	;; [unrolled: 4-line block ×3, first 2 shown]
	v_fmac_f16_e32 v103, 0x33a8, v54
	v_add_f16_e32 v36, v117, v63
	v_add_f16_e32 v32, v76, v32
	;; [unrolled: 1-line block ×14, first 2 shown]
	v_mul_f16_e32 v45, 0xb3a8, v18
	v_add_f16_e32 v10, v10, v14
	v_fmamk_f16 v51, v54, 0x394e, v97
	v_fma_f16 v96, v52, 0xb9fd, -v96
	v_fmac_f16_e32 v97, 0xb94e, v54
	v_add_f16_e32 v50, v118, v106
	v_add_f16_e32 v34, v126, v34
	;; [unrolled: 1-line block ×13, first 2 shown]
	v_fmamk_f16 v26, v54, 0x3b7b, v53
	v_fma_f16 v14, v52, 0xb5ac, -v55
	v_sub_f16_e32 v13, v7, v13
	v_fmamk_f16 v7, v44, 0xbbc4, v45
	v_mul_f16_e32 v46, 0xbbc4, v10
	v_fmamk_f16 v146, v52, 0x2fb7, v98
	v_fmamk_f16 v147, v54, 0xbbf1, v99
	v_fma_f16 v98, v52, 0x2fb7, -v98
	v_fmac_f16_e32 v99, 0x3bf1, v54
	v_add_f16_e32 v59, v120, v108
	v_add_f16_e32 v39, v128, v50
	;; [unrolled: 1-line block ×12, first 2 shown]
	v_fmamk_f16 v7, v13, 0x33a8, v46
	v_mul_f16_e32 v35, 0x3770, v18
	v_fma_f16 v26, v44, 0xbbc4, -v45
	v_fmac_f16_e32 v46, 0xb3a8, v13
	v_mul_f16_e32 v45, 0x3b15, v10
	v_add_f16_e32 v50, v130, v59
	v_add_f16_e32 v39, v138, v39
	;; [unrolled: 1-line block ×8, first 2 shown]
	v_fmamk_f16 v48, v44, 0x3b15, v35
	v_add_f16_e32 v7, v26, v30
	v_add_f16_e32 v26, v46, v31
	v_fmamk_f16 v30, v13, 0xb770, v45
	v_mul_f16_e32 v31, 0xb94e, v18
	v_fma_f16 v35, v44, 0x3b15, -v35
	v_fmac_f16_e32 v45, 0x3770, v13
	v_fmamk_f16 v149, v54, 0x3a95, v101
	v_fmac_f16_e32 v101, 0xba95, v54
	v_add_f16_e32 v63, v122, v110
	v_add_f16_e32 v40, v139, v40
	v_add_f16_e32 v42, v91, v42
	v_add_f16_e32 v43, v140, v50
	v_add_f16_e32 v37, v148, v39
	v_add_f16_e32 v30, v30, v33
	v_fmamk_f16 v33, v44, 0xb9fd, v31
	v_mul_f16_e32 v46, 0xb9fd, v10
	v_add_f16_e32 v34, v35, v34
	v_add_f16_e32 v35, v45, v36
	v_mul_f16_e32 v36, 0x3a95, v18
	v_add_f16_e32 v65, v75, v65
	v_add_f16_e32 v59, v132, v63
	;; [unrolled: 1-line block ×7, first 2 shown]
	v_fmamk_f16 v37, v13, 0x394e, v46
	v_fma_f16 v31, v44, 0xb9fd, -v31
	v_fmac_f16_e32 v46, 0xb94e, v13
	v_fmamk_f16 v45, v44, 0x388b, v36
	v_mul_f16_e32 v48, 0x388b, v10
	v_fmamk_f16 v152, v52, 0x3b15, v104
	v_fmamk_f16 v153, v54, 0xb770, v105
	v_fma_f16 v104, v52, 0x3b15, -v104
	v_add_f16_e32 v62, v85, v65
	v_add_f16_e32 v50, v142, v59
	;; [unrolled: 1-line block ×7, first 2 shown]
	v_fmamk_f16 v39, v13, 0xba95, v48
	v_mul_f16_e32 v40, 0xbb7b, v18
	v_fma_f16 v36, v44, 0x388b, -v36
	v_fmac_f16_e32 v48, 0x3a95, v13
	v_mul_f16_e32 v45, 0xb5ac, v10
	v_add_f16_e32 v67, v124, v112
	v_fmac_f16_e32 v105, 0x3770, v54
	v_add_f16_e32 v58, v95, v62
	v_add_f16_e32 v16, v16, v21
	;; [unrolled: 1-line block ×6, first 2 shown]
	v_fmamk_f16 v39, v44, 0xb5ac, v40
	v_add_f16_e32 v22, v36, v22
	v_add_f16_e32 v36, v48, v41
	v_fmamk_f16 v41, v13, 0x3b7b, v45
	v_fma_f16 v40, v44, 0xb5ac, -v40
	v_add_f16_e32 v63, v134, v67
	v_add_f16_e32 v16, v16, v20
	;; [unrolled: 1-line block ×3, first 2 shown]
	v_fmac_f16_e32 v53, 0xbb7b, v54
	v_add_f16_e32 v17, v39, v17
	v_fmac_f16_e32 v45, 0xbb7b, v13
	v_add_f16_e32 v21, v41, v21
	v_add_f16_e32 v39, v40, v42
	v_mul_f16_e32 v10, 0x2fb7, v10
	v_mov_b32_e32 v41, 0x374
	v_mov_b32_e32 v42, 2
	v_fmamk_f16 v154, v52, 0xb5ac, v55
	v_add_f16_e32 v59, v144, v63
	v_mul_f16_e32 v18, 0x3bf1, v18
	v_add_f16_e32 v9, v53, v9
	v_add_f16_e32 v20, v45, v20
	v_fmamk_f16 v45, v13, 0xbbf1, v10
	v_fmac_f16_e32 v10, 0x3bf1, v13
	v_mul_u32_u24_sdwa v4, v4, v41 dst_sel:DWORD dst_unused:UNUSED_PAD src0_sel:WORD_0 src1_sel:DWORD
	v_lshlrev_b32_sdwa v11, v42, v11 dst_sel:DWORD dst_unused:UNUSED_PAD src0_sel:DWORD src1_sel:BYTE_0
	v_add_f16_e32 v43, v154, v59
	v_fmamk_f16 v40, v44, 0x2fb7, v18
	v_fma_f16 v18, v44, 0x2fb7, -v18
	v_add_f16_e32 v9, v10, v9
	v_add3_u32 v4, 0, v4, v11
	v_pack_b32_f16 v10, v15, v16
	v_pack_b32_f16 v11, v28, v29
	v_add_f16_e32 v13, v40, v43
	v_add_f16_e32 v40, v45, v47
	;; [unrolled: 1-line block ×3, first 2 shown]
	v_pack_b32_f16 v15, v32, v30
	v_pack_b32_f16 v16, v33, v37
	ds_write2_b32 v4, v10, v11 offset1:17
	ds_write2_b32 v4, v15, v16 offset0:34 offset1:51
	v_pack_b32_f16 v10, v38, v19
	v_pack_b32_f16 v11, v17, v21
	;; [unrolled: 1-line block ×9, first 2 shown]
	ds_write2_b32 v4, v10, v11 offset0:68 offset1:85
	ds_write2_b32 v4, v13, v9 offset0:102 offset1:119
	;; [unrolled: 1-line block ×4, first 2 shown]
	ds_write_b32 v4, v18 offset:816
	v_add_nc_u32_e32 v4, 0x200, v0
	v_add_nc_u32_e32 v11, 0x800, v0
	s_waitcnt lgkmcnt(0)
	s_barrier
	buffer_gl0_inv
	ds_read2_b32 v[9:10], v0 offset1:51
	ds_read2_b32 v[15:16], v4 offset0:93 offset1:144
	ds_read2_b32 v[17:18], v12 offset0:186 offset1:237
	;; [unrolled: 1-line block ×5, first 2 shown]
	s_and_saveexec_b32 s1, s0
	s_cbranch_execz .LBB0_15
; %bb.14:
	v_add_nc_u32_e32 v4, 0x300, v0
	ds_read2_b32 v[7:8], v4 offset0:12 offset1:233
	ds_read_b32 v23, v0 offset:2584
	s_waitcnt lgkmcnt(1)
	v_lshrrev_b32_e32 v26, 16, v7
	v_lshrrev_b32_e32 v25, 16, v8
	s_waitcnt lgkmcnt(0)
	v_lshrrev_b32_e32 v24, 16, v23
.LBB0_15:
	s_or_b32 exec_lo, exec_lo, s1
	s_and_saveexec_b32 s1, vcc_lo
	s_cbranch_execz .LBB0_18
; %bb.16:
	v_add_nc_u32_e32 v0, 0x99, v3
	v_mov_b32_e32 v12, 0
	v_add_nc_u32_e32 v4, 0x66, v3
	v_lshlrev_b32_e32 v31, 1, v3
	v_mul_lo_u32 v35, s3, v5
	v_lshlrev_b32_e32 v11, 1, v0
	v_mov_b32_e32 v32, v12
	v_mul_hi_u32 v37, 0x288b0129, v0
	v_mul_lo_u32 v36, s2, v6
	v_mad_u64_u32 v[5:6], null, s2, v5, 0
	v_lshlrev_b64 v[27:28], 2, v[11:12]
	v_lshlrev_b32_e32 v11, 1, v4
	s_waitcnt lgkmcnt(0)
	v_lshrrev_b32_e32 v45, 16, v22
	v_lshrrev_b32_e32 v46, 16, v20
	v_sub_nc_u32_e32 v39, v0, v37
	v_lshlrev_b64 v[0:1], 2, v[1:2]
	v_lshlrev_b64 v[29:30], 2, v[11:12]
	v_add_nc_u32_e32 v11, 0x66, v31
	v_add_co_u32 v27, vcc_lo, s8, v27
	v_add_co_ci_u32_e32 v28, vcc_lo, s9, v28, vcc_lo
	v_lshlrev_b64 v[33:34], 2, v[11:12]
	v_add_co_u32 v29, vcc_lo, s8, v29
	v_lshlrev_b64 v[31:32], 2, v[31:32]
	global_load_dwordx2 v[27:28], v[27:28], off offset:816
	v_add_co_ci_u32_e32 v30, vcc_lo, s9, v30, vcc_lo
	v_add_co_u32 v33, vcc_lo, s8, v33
	v_add_co_ci_u32_e32 v34, vcc_lo, s9, v34, vcc_lo
	global_load_dwordx2 v[29:30], v[29:30], off offset:816
	v_add_co_u32 v31, vcc_lo, s8, v31
	v_add_co_ci_u32_e32 v32, vcc_lo, s9, v32, vcc_lo
	s_clause 0x1
	global_load_dwordx2 v[33:34], v[33:34], off offset:816
	global_load_dwordx2 v[31:32], v[31:32], off offset:816
	v_mul_hi_u32 v11, 0x288b0129, v4
	v_add3_u32 v6, v6, v36, v35
	v_lshrrev_b32_e32 v2, 1, v39
	v_lshrrev_b32_e32 v47, 16, v19
	;; [unrolled: 1-line block ×4, first 2 shown]
	v_lshlrev_b64 v[5:6], 2, v[5:6]
	v_add_nc_u32_e32 v2, v2, v37
	v_sub_nc_u32_e32 v4, v4, v11
	v_lshrrev_b32_e32 v49, 16, v16
	v_lshrrev_b32_e32 v50, 16, v18
	;; [unrolled: 1-line block ×3, first 2 shown]
	v_add_co_u32 v5, vcc_lo, s14, v5
	v_lshrrev_b32_e32 v38, 1, v4
	v_mov_b32_e32 v4, v12
	v_add_co_ci_u32_e32 v6, vcc_lo, s15, v6, vcc_lo
	v_lshrrev_b32_e32 v2, 7, v2
	v_add_nc_u32_e32 v11, v38, v11
	v_lshlrev_b64 v[35:36], 2, v[3:4]
	v_add_co_u32 v0, vcc_lo, v5, v0
	v_add_co_ci_u32_e32 v1, vcc_lo, v6, v1, vcc_lo
	v_lshrrev_b32_e32 v4, 7, v11
	v_add_co_u32 v0, vcc_lo, v0, v35
	v_add_co_ci_u32_e32 v1, vcc_lo, v1, v36, vcc_lo
	v_mul_u32_u24_e32 v11, 0x1ba, v4
	v_lshrrev_b32_e32 v52, 16, v17
	v_lshrrev_b32_e32 v43, 16, v13
	;; [unrolled: 1-line block ×4, first 2 shown]
	v_lshlrev_b64 v[4:5], 2, v[11:12]
	v_mul_u32_u24_e32 v11, 0x1ba, v2
	v_lshlrev_b64 v[35:36], 2, v[11:12]
	v_add_co_u32 v4, vcc_lo, v0, v4
	v_add_co_ci_u32_e32 v5, vcc_lo, v1, v5, vcc_lo
	v_add_co_u32 v37, vcc_lo, 0x198, v4
	v_add_co_ci_u32_e32 v38, vcc_lo, 0, v5, vcc_lo
	;; [unrolled: 2-line block ×4, first 2 shown]
	s_waitcnt vmcnt(3)
	v_mul_f16_sdwa v2, v27, v20 dst_sel:DWORD dst_unused:UNUSED_PAD src0_sel:WORD_1 src1_sel:DWORD
	v_mul_f16_sdwa v6, v22, v28 dst_sel:DWORD dst_unused:UNUSED_PAD src0_sel:DWORD src1_sel:WORD_1
	v_mul_f16_sdwa v11, v27, v46 dst_sel:DWORD dst_unused:UNUSED_PAD src0_sel:WORD_1 src1_sel:DWORD
	v_mul_f16_sdwa v53, v45, v28 dst_sel:DWORD dst_unused:UNUSED_PAD src0_sel:DWORD src1_sel:WORD_1
	v_fma_f16 v2, v27, v46, -v2
	v_fma_f16 v6, v45, v28, -v6
	v_fmac_f16_e32 v11, v27, v20
	v_fmac_f16_e32 v53, v22, v28
	s_waitcnt vmcnt(2)
	v_mul_f16_sdwa v20, v29, v19 dst_sel:DWORD dst_unused:UNUSED_PAD src0_sel:WORD_1 src1_sel:DWORD
	v_mul_f16_sdwa v22, v30, v21 dst_sel:DWORD dst_unused:UNUSED_PAD src0_sel:WORD_1 src1_sel:DWORD
	v_mul_f16_sdwa v27, v29, v47 dst_sel:DWORD dst_unused:UNUSED_PAD src0_sel:WORD_1 src1_sel:DWORD
	v_mul_f16_sdwa v28, v30, v48 dst_sel:DWORD dst_unused:UNUSED_PAD src0_sel:WORD_1 src1_sel:DWORD
	v_add_f16_e32 v45, v2, v6
	v_sub_f16_e32 v46, v11, v53
	v_add_f16_e32 v54, v44, v2
	v_add_f16_e32 v55, v11, v53
	;; [unrolled: 1-line block ×3, first 2 shown]
	v_fma_f16 v20, v29, v47, -v20
	v_fma_f16 v22, v30, v48, -v22
	v_fmac_f16_e32 v27, v29, v19
	v_fmac_f16_e32 v28, v30, v21
	s_waitcnt vmcnt(1)
	v_mul_f16_sdwa v19, v33, v16 dst_sel:DWORD dst_unused:UNUSED_PAD src0_sel:WORD_1 src1_sel:DWORD
	v_mul_f16_sdwa v21, v34, v18 dst_sel:DWORD dst_unused:UNUSED_PAD src0_sel:WORD_1 src1_sel:DWORD
	;; [unrolled: 1-line block ×4, first 2 shown]
	s_waitcnt vmcnt(0)
	v_mul_f16_sdwa v47, v31, v15 dst_sel:DWORD dst_unused:UNUSED_PAD src0_sel:WORD_1 src1_sel:DWORD
	v_mul_f16_sdwa v48, v32, v17 dst_sel:DWORD dst_unused:UNUSED_PAD src0_sel:WORD_1 src1_sel:DWORD
	;; [unrolled: 1-line block ×4, first 2 shown]
	v_sub_f16_e32 v2, v2, v6
	v_fma_f16 v44, -0.5, v45, v44
	v_add_f16_e32 v6, v54, v6
	v_fma_f16 v14, -0.5, v55, v14
	v_add_f16_e32 v11, v11, v53
	v_add_f16_e32 v45, v20, v22
	v_sub_f16_e32 v53, v27, v28
	v_add_f16_e32 v54, v27, v28
	v_sub_f16_e32 v55, v20, v22
	v_add_f16_e32 v20, v43, v20
	v_add_f16_e32 v27, v13, v27
	v_fma_f16 v19, v33, v49, -v19
	v_fma_f16 v21, v34, v50, -v21
	v_fmac_f16_e32 v29, v33, v16
	v_fmac_f16_e32 v30, v34, v18
	v_fma_f16 v16, v31, v51, -v47
	v_fma_f16 v18, v32, v52, -v48
	v_fmac_f16_e32 v56, v31, v15
	v_fmac_f16_e32 v57, v32, v17
	v_fmamk_f16 v17, v2, 0x3aee, v14
	v_fmac_f16_e32 v14, 0xbaee, v2
	v_fma_f16 v2, -0.5, v45, v43
	v_add_f16_e32 v20, v20, v22
	v_add_f16_e32 v22, v27, v28
	;; [unrolled: 1-line block ×3, first 2 shown]
	v_sub_f16_e32 v28, v29, v30
	v_add_f16_e32 v31, v29, v30
	v_sub_f16_e32 v32, v19, v21
	v_add_f16_e32 v19, v42, v19
	v_add_f16_e32 v29, v10, v29
	;; [unrolled: 1-line block ×4, first 2 shown]
	v_fmamk_f16 v15, v46, 0xbaee, v44
	v_fmac_f16_e32 v44, 0x3aee, v46
	v_sub_f16_e32 v45, v16, v18
	v_add_f16_e32 v16, v41, v16
	v_add_f16_e32 v46, v9, v56
	v_fma_f16 v13, -0.5, v54, v13
	v_sub_f16_e32 v34, v56, v57
	v_fma_f16 v27, -0.5, v27, v42
	v_add_f16_e32 v19, v19, v21
	v_add_f16_e32 v21, v29, v30
	v_fma_f16 v29, -0.5, v33, v41
	v_fma_f16 v9, -0.5, v43, v9
	;; [unrolled: 1-line block ×3, first 2 shown]
	v_add_f16_e32 v16, v16, v18
	v_add_f16_e32 v18, v46, v57
	v_pack_b32_f16 v6, v11, v6
	v_fmamk_f16 v11, v53, 0xbaee, v2
	v_fmamk_f16 v47, v55, 0x3aee, v13
	v_pack_b32_f16 v15, v17, v15
	v_fmamk_f16 v17, v28, 0xbaee, v27
	v_fmac_f16_e32 v27, 0x3aee, v28
	v_fmamk_f16 v28, v34, 0xbaee, v29
	v_fmamk_f16 v30, v45, 0x3aee, v9
	v_fmac_f16_e32 v29, 0x3aee, v34
	v_fmac_f16_e32 v9, 0xbaee, v45
	;; [unrolled: 1-line block ×4, first 2 shown]
	v_pack_b32_f16 v20, v22, v20
	v_fmamk_f16 v22, v32, 0x3aee, v10
	v_fmac_f16_e32 v10, 0xbaee, v32
	v_pack_b32_f16 v16, v18, v16
	v_pack_b32_f16 v18, v21, v19
	;; [unrolled: 1-line block ×7, first 2 shown]
	global_store_dword v[0:1], v16, off
	v_pack_b32_f16 v16, v22, v17
	v_pack_b32_f16 v14, v14, v44
	global_store_dword v[0:1], v18, off offset:204
	global_store_dword v[37:38], v11, off offset:1768
	;; [unrolled: 1-line block ×11, first 2 shown]
	s_and_b32 exec_lo, exec_lo, s0
	s_cbranch_execz .LBB0_18
; %bb.17:
	v_mov_b32_e32 v2, 0xcc
	v_cndmask_b32_e64 v2, 0xffffffef, v2, s0
	v_add_lshl_u32 v11, v3, v2, 1
	v_lshlrev_b64 v[2:3], 2, v[11:12]
	v_add_co_u32 v2, vcc_lo, s8, v2
	v_add_co_ci_u32_e32 v3, vcc_lo, s9, v3, vcc_lo
	global_load_dwordx2 v[2:3], v[2:3], off offset:816
	s_waitcnt vmcnt(0)
	v_mul_f16_sdwa v4, v25, v2 dst_sel:DWORD dst_unused:UNUSED_PAD src0_sel:DWORD src1_sel:WORD_1
	v_mul_f16_sdwa v5, v24, v3 dst_sel:DWORD dst_unused:UNUSED_PAD src0_sel:DWORD src1_sel:WORD_1
	;; [unrolled: 1-line block ×4, first 2 shown]
	v_fmac_f16_e32 v4, v8, v2
	v_fmac_f16_e32 v5, v23, v3
	v_fma_f16 v2, v25, v2, -v6
	v_fma_f16 v3, v24, v3, -v9
	v_add_f16_e32 v8, v7, v4
	v_add_f16_e32 v6, v4, v5
	v_sub_f16_e32 v4, v4, v5
	v_add_f16_e32 v9, v2, v3
	v_sub_f16_e32 v10, v2, v3
	v_add_f16_e32 v2, v26, v2
	v_fmac_f16_e32 v7, -0.5, v6
	v_add_f16_e32 v5, v8, v5
	v_fmac_f16_e32 v26, -0.5, v9
	v_add_f16_e32 v6, v2, v3
	v_fmamk_f16 v8, v10, 0xbaee, v7
	v_fmac_f16_e32 v7, 0x3aee, v10
	v_fmamk_f16 v9, v4, 0x3aee, v26
	v_fmac_f16_e32 v26, 0xbaee, v4
	v_add_co_u32 v2, vcc_lo, 0x800, v0
	v_pack_b32_f16 v4, v5, v6
	v_pack_b32_f16 v5, v8, v9
	v_add_co_ci_u32_e32 v3, vcc_lo, 0, v1, vcc_lo
	v_pack_b32_f16 v6, v7, v26
	global_store_dword v[0:1], v4, off offset:816
	global_store_dword v[0:1], v5, off offset:1700
	;; [unrolled: 1-line block ×3, first 2 shown]
.LBB0_18:
	s_endpgm
	.section	.rodata,"a",@progbits
	.p2align	6, 0x0
	.amdhsa_kernel fft_rtc_back_len663_factors_17_13_3_wgs_51_tpt_51_half_op_CI_CI_unitstride_sbrr_dirReg
		.amdhsa_group_segment_fixed_size 0
		.amdhsa_private_segment_fixed_size 0
		.amdhsa_kernarg_size 104
		.amdhsa_user_sgpr_count 6
		.amdhsa_user_sgpr_private_segment_buffer 1
		.amdhsa_user_sgpr_dispatch_ptr 0
		.amdhsa_user_sgpr_queue_ptr 0
		.amdhsa_user_sgpr_kernarg_segment_ptr 1
		.amdhsa_user_sgpr_dispatch_id 0
		.amdhsa_user_sgpr_flat_scratch_init 0
		.amdhsa_user_sgpr_private_segment_size 0
		.amdhsa_wavefront_size32 1
		.amdhsa_uses_dynamic_stack 0
		.amdhsa_system_sgpr_private_segment_wavefront_offset 0
		.amdhsa_system_sgpr_workgroup_id_x 1
		.amdhsa_system_sgpr_workgroup_id_y 0
		.amdhsa_system_sgpr_workgroup_id_z 0
		.amdhsa_system_sgpr_workgroup_info 0
		.amdhsa_system_vgpr_workitem_id 0
		.amdhsa_next_free_vgpr 156
		.amdhsa_next_free_sgpr 27
		.amdhsa_reserve_vcc 1
		.amdhsa_reserve_flat_scratch 0
		.amdhsa_float_round_mode_32 0
		.amdhsa_float_round_mode_16_64 0
		.amdhsa_float_denorm_mode_32 3
		.amdhsa_float_denorm_mode_16_64 3
		.amdhsa_dx10_clamp 1
		.amdhsa_ieee_mode 1
		.amdhsa_fp16_overflow 0
		.amdhsa_workgroup_processor_mode 1
		.amdhsa_memory_ordered 1
		.amdhsa_forward_progress 0
		.amdhsa_shared_vgpr_count 0
		.amdhsa_exception_fp_ieee_invalid_op 0
		.amdhsa_exception_fp_denorm_src 0
		.amdhsa_exception_fp_ieee_div_zero 0
		.amdhsa_exception_fp_ieee_overflow 0
		.amdhsa_exception_fp_ieee_underflow 0
		.amdhsa_exception_fp_ieee_inexact 0
		.amdhsa_exception_int_div_zero 0
	.end_amdhsa_kernel
	.text
.Lfunc_end0:
	.size	fft_rtc_back_len663_factors_17_13_3_wgs_51_tpt_51_half_op_CI_CI_unitstride_sbrr_dirReg, .Lfunc_end0-fft_rtc_back_len663_factors_17_13_3_wgs_51_tpt_51_half_op_CI_CI_unitstride_sbrr_dirReg
                                        ; -- End function
	.section	.AMDGPU.csdata,"",@progbits
; Kernel info:
; codeLenInByte = 12172
; NumSgprs: 29
; NumVgprs: 156
; ScratchSize: 0
; MemoryBound: 0
; FloatMode: 240
; IeeeMode: 1
; LDSByteSize: 0 bytes/workgroup (compile time only)
; SGPRBlocks: 3
; VGPRBlocks: 19
; NumSGPRsForWavesPerEU: 29
; NumVGPRsForWavesPerEU: 156
; Occupancy: 6
; WaveLimiterHint : 1
; COMPUTE_PGM_RSRC2:SCRATCH_EN: 0
; COMPUTE_PGM_RSRC2:USER_SGPR: 6
; COMPUTE_PGM_RSRC2:TRAP_HANDLER: 0
; COMPUTE_PGM_RSRC2:TGID_X_EN: 1
; COMPUTE_PGM_RSRC2:TGID_Y_EN: 0
; COMPUTE_PGM_RSRC2:TGID_Z_EN: 0
; COMPUTE_PGM_RSRC2:TIDIG_COMP_CNT: 0
	.text
	.p2alignl 6, 3214868480
	.fill 48, 4, 3214868480
	.type	__hip_cuid_794bcf7a54fa97e4,@object ; @__hip_cuid_794bcf7a54fa97e4
	.section	.bss,"aw",@nobits
	.globl	__hip_cuid_794bcf7a54fa97e4
__hip_cuid_794bcf7a54fa97e4:
	.byte	0                               ; 0x0
	.size	__hip_cuid_794bcf7a54fa97e4, 1

	.ident	"AMD clang version 19.0.0git (https://github.com/RadeonOpenCompute/llvm-project roc-6.4.0 25133 c7fe45cf4b819c5991fe208aaa96edf142730f1d)"
	.section	".note.GNU-stack","",@progbits
	.addrsig
	.addrsig_sym __hip_cuid_794bcf7a54fa97e4
	.amdgpu_metadata
---
amdhsa.kernels:
  - .args:
      - .actual_access:  read_only
        .address_space:  global
        .offset:         0
        .size:           8
        .value_kind:     global_buffer
      - .offset:         8
        .size:           8
        .value_kind:     by_value
      - .actual_access:  read_only
        .address_space:  global
        .offset:         16
        .size:           8
        .value_kind:     global_buffer
      - .actual_access:  read_only
        .address_space:  global
        .offset:         24
        .size:           8
        .value_kind:     global_buffer
      - .actual_access:  read_only
        .address_space:  global
        .offset:         32
        .size:           8
        .value_kind:     global_buffer
      - .offset:         40
        .size:           8
        .value_kind:     by_value
      - .actual_access:  read_only
        .address_space:  global
        .offset:         48
        .size:           8
        .value_kind:     global_buffer
      - .actual_access:  read_only
        .address_space:  global
        .offset:         56
        .size:           8
        .value_kind:     global_buffer
      - .offset:         64
        .size:           4
        .value_kind:     by_value
      - .actual_access:  read_only
        .address_space:  global
        .offset:         72
        .size:           8
        .value_kind:     global_buffer
      - .actual_access:  read_only
        .address_space:  global
        .offset:         80
        .size:           8
        .value_kind:     global_buffer
      - .actual_access:  read_only
        .address_space:  global
        .offset:         88
        .size:           8
        .value_kind:     global_buffer
      - .actual_access:  write_only
        .address_space:  global
        .offset:         96
        .size:           8
        .value_kind:     global_buffer
    .group_segment_fixed_size: 0
    .kernarg_segment_align: 8
    .kernarg_segment_size: 104
    .language:       OpenCL C
    .language_version:
      - 2
      - 0
    .max_flat_workgroup_size: 51
    .name:           fft_rtc_back_len663_factors_17_13_3_wgs_51_tpt_51_half_op_CI_CI_unitstride_sbrr_dirReg
    .private_segment_fixed_size: 0
    .sgpr_count:     29
    .sgpr_spill_count: 0
    .symbol:         fft_rtc_back_len663_factors_17_13_3_wgs_51_tpt_51_half_op_CI_CI_unitstride_sbrr_dirReg.kd
    .uniform_work_group_size: 1
    .uses_dynamic_stack: false
    .vgpr_count:     156
    .vgpr_spill_count: 0
    .wavefront_size: 32
    .workgroup_processor_mode: 1
amdhsa.target:   amdgcn-amd-amdhsa--gfx1030
amdhsa.version:
  - 1
  - 2
...

	.end_amdgpu_metadata
